;; amdgpu-corpus repo=ROCm/rocFFT kind=compiled arch=gfx950 opt=O3
	.text
	.amdgcn_target "amdgcn-amd-amdhsa--gfx950"
	.amdhsa_code_object_version 6
	.protected	fft_rtc_back_len1575_factors_3_3_5_7_5_wgs_63_tpt_63_halfLds_dp_ip_CI_sbrr_dirReg ; -- Begin function fft_rtc_back_len1575_factors_3_3_5_7_5_wgs_63_tpt_63_halfLds_dp_ip_CI_sbrr_dirReg
	.globl	fft_rtc_back_len1575_factors_3_3_5_7_5_wgs_63_tpt_63_halfLds_dp_ip_CI_sbrr_dirReg
	.p2align	8
	.type	fft_rtc_back_len1575_factors_3_3_5_7_5_wgs_63_tpt_63_halfLds_dp_ip_CI_sbrr_dirReg,@function
fft_rtc_back_len1575_factors_3_3_5_7_5_wgs_63_tpt_63_halfLds_dp_ip_CI_sbrr_dirReg: ; @fft_rtc_back_len1575_factors_3_3_5_7_5_wgs_63_tpt_63_halfLds_dp_ip_CI_sbrr_dirReg
; %bb.0:
	s_load_dwordx2 s[12:13], s[0:1], 0x18
	s_load_dwordx4 s[4:7], s[0:1], 0x0
	s_load_dwordx2 s[10:11], s[0:1], 0x50
	v_mul_u32_u24_e32 v1, 0x411, v0
	v_add_u32_sdwa v6, s2, v1 dst_sel:DWORD dst_unused:UNUSED_PAD src0_sel:DWORD src1_sel:WORD_1
	s_waitcnt lgkmcnt(0)
	s_load_dwordx2 s[8:9], s[12:13], 0x0
	v_mov_b32_e32 v4, 0
	v_cmp_lt_u64_e64 s[2:3], s[6:7], 2
	v_mov_b32_e32 v7, v4
	s_and_b64 vcc, exec, s[2:3]
	v_mov_b64_e32 v[2:3], 0
	s_cbranch_vccnz .LBB0_8
; %bb.1:
	s_load_dwordx2 s[2:3], s[0:1], 0x10
	s_add_u32 s14, s12, 8
	s_addc_u32 s15, s13, 0
	s_mov_b64 s[16:17], 1
	v_mov_b64_e32 v[2:3], 0
	s_waitcnt lgkmcnt(0)
	s_add_u32 s18, s2, 8
	s_addc_u32 s19, s3, 0
.LBB0_2:                                ; =>This Inner Loop Header: Depth=1
	s_load_dwordx2 s[20:21], s[18:19], 0x0
                                        ; implicit-def: $vgpr8_vgpr9
	s_waitcnt lgkmcnt(0)
	v_or_b32_e32 v5, s21, v7
	v_cmp_ne_u64_e32 vcc, 0, v[4:5]
	s_and_saveexec_b64 s[2:3], vcc
	s_xor_b64 s[22:23], exec, s[2:3]
	s_cbranch_execz .LBB0_4
; %bb.3:                                ;   in Loop: Header=BB0_2 Depth=1
	v_cvt_f32_u32_e32 v1, s20
	v_cvt_f32_u32_e32 v5, s21
	s_sub_u32 s2, 0, s20
	s_subb_u32 s3, 0, s21
	v_fmac_f32_e32 v1, 0x4f800000, v5
	v_rcp_f32_e32 v1, v1
	s_nop 0
	v_mul_f32_e32 v1, 0x5f7ffffc, v1
	v_mul_f32_e32 v5, 0x2f800000, v1
	v_trunc_f32_e32 v5, v5
	v_fmac_f32_e32 v1, 0xcf800000, v5
	v_cvt_u32_f32_e32 v5, v5
	v_cvt_u32_f32_e32 v1, v1
	v_mul_lo_u32 v8, s2, v5
	v_mul_hi_u32 v10, s2, v1
	v_mul_lo_u32 v9, s3, v1
	v_add_u32_e32 v10, v10, v8
	v_mul_lo_u32 v12, s2, v1
	v_add_u32_e32 v13, v10, v9
	v_mul_hi_u32 v8, v1, v12
	v_mul_hi_u32 v11, v1, v13
	v_mul_lo_u32 v10, v1, v13
	v_mov_b32_e32 v9, v4
	v_lshl_add_u64 v[8:9], v[8:9], 0, v[10:11]
	v_mul_hi_u32 v11, v5, v12
	v_mul_lo_u32 v12, v5, v12
	v_add_co_u32_e32 v8, vcc, v8, v12
	v_mul_hi_u32 v10, v5, v13
	s_nop 0
	v_addc_co_u32_e32 v8, vcc, v9, v11, vcc
	v_mov_b32_e32 v9, v4
	s_nop 0
	v_addc_co_u32_e32 v11, vcc, 0, v10, vcc
	v_mul_lo_u32 v10, v5, v13
	v_lshl_add_u64 v[8:9], v[8:9], 0, v[10:11]
	v_add_co_u32_e32 v1, vcc, v1, v8
	v_mul_lo_u32 v10, s2, v1
	s_nop 0
	v_addc_co_u32_e32 v5, vcc, v5, v9, vcc
	v_mul_lo_u32 v8, s2, v5
	v_mul_hi_u32 v9, s2, v1
	v_add_u32_e32 v8, v9, v8
	v_mul_lo_u32 v9, s3, v1
	v_add_u32_e32 v12, v8, v9
	v_mul_hi_u32 v14, v5, v10
	v_mul_lo_u32 v15, v5, v10
	v_mul_hi_u32 v9, v1, v12
	v_mul_lo_u32 v8, v1, v12
	v_mul_hi_u32 v10, v1, v10
	v_mov_b32_e32 v11, v4
	v_lshl_add_u64 v[8:9], v[10:11], 0, v[8:9]
	v_add_co_u32_e32 v8, vcc, v8, v15
	v_mul_hi_u32 v13, v5, v12
	s_nop 0
	v_addc_co_u32_e32 v8, vcc, v9, v14, vcc
	v_mul_lo_u32 v10, v5, v12
	s_nop 0
	v_addc_co_u32_e32 v11, vcc, 0, v13, vcc
	v_mov_b32_e32 v9, v4
	v_lshl_add_u64 v[8:9], v[8:9], 0, v[10:11]
	v_add_co_u32_e32 v1, vcc, v1, v8
	v_mul_hi_u32 v10, v6, v1
	s_nop 0
	v_addc_co_u32_e32 v5, vcc, v5, v9, vcc
	v_mad_u64_u32 v[8:9], s[2:3], v6, v5, 0
	v_mov_b32_e32 v11, v4
	v_lshl_add_u64 v[8:9], v[10:11], 0, v[8:9]
	v_mad_u64_u32 v[12:13], s[2:3], v7, v1, 0
	v_add_co_u32_e32 v1, vcc, v8, v12
	v_mad_u64_u32 v[10:11], s[2:3], v7, v5, 0
	s_nop 0
	v_addc_co_u32_e32 v8, vcc, v9, v13, vcc
	v_mov_b32_e32 v9, v4
	s_nop 0
	v_addc_co_u32_e32 v11, vcc, 0, v11, vcc
	v_lshl_add_u64 v[8:9], v[8:9], 0, v[10:11]
	v_mul_lo_u32 v1, s21, v8
	v_mul_lo_u32 v5, s20, v9
	v_mad_u64_u32 v[10:11], s[2:3], s20, v8, 0
	v_add3_u32 v1, v11, v5, v1
	v_sub_u32_e32 v5, v7, v1
	v_mov_b32_e32 v11, s21
	v_sub_co_u32_e32 v14, vcc, v6, v10
	v_lshl_add_u64 v[12:13], v[8:9], 0, 1
	s_nop 0
	v_subb_co_u32_e64 v5, s[2:3], v5, v11, vcc
	v_subrev_co_u32_e64 v10, s[2:3], s20, v14
	v_subb_co_u32_e32 v1, vcc, v7, v1, vcc
	s_nop 0
	v_subbrev_co_u32_e64 v5, s[2:3], 0, v5, s[2:3]
	v_cmp_le_u32_e64 s[2:3], s21, v5
	v_cmp_le_u32_e32 vcc, s21, v1
	s_nop 0
	v_cndmask_b32_e64 v11, 0, -1, s[2:3]
	v_cmp_le_u32_e64 s[2:3], s20, v10
	s_nop 1
	v_cndmask_b32_e64 v10, 0, -1, s[2:3]
	v_cmp_eq_u32_e64 s[2:3], s21, v5
	s_nop 1
	v_cndmask_b32_e64 v5, v11, v10, s[2:3]
	v_lshl_add_u64 v[10:11], v[8:9], 0, 2
	v_cmp_ne_u32_e64 s[2:3], 0, v5
	s_nop 1
	v_cndmask_b32_e64 v5, v13, v11, s[2:3]
	v_cndmask_b32_e64 v11, 0, -1, vcc
	v_cmp_le_u32_e32 vcc, s20, v14
	s_nop 1
	v_cndmask_b32_e64 v13, 0, -1, vcc
	v_cmp_eq_u32_e32 vcc, s21, v1
	s_nop 1
	v_cndmask_b32_e32 v1, v11, v13, vcc
	v_cmp_ne_u32_e32 vcc, 0, v1
	v_cndmask_b32_e64 v1, v12, v10, s[2:3]
	s_nop 0
	v_cndmask_b32_e32 v9, v9, v5, vcc
	v_cndmask_b32_e32 v8, v8, v1, vcc
.LBB0_4:                                ;   in Loop: Header=BB0_2 Depth=1
	s_andn2_saveexec_b64 s[2:3], s[22:23]
	s_cbranch_execz .LBB0_6
; %bb.5:                                ;   in Loop: Header=BB0_2 Depth=1
	v_cvt_f32_u32_e32 v1, s20
	s_sub_i32 s22, 0, s20
	v_rcp_iflag_f32_e32 v1, v1
	s_nop 0
	v_mul_f32_e32 v1, 0x4f7ffffe, v1
	v_cvt_u32_f32_e32 v1, v1
	v_mul_lo_u32 v5, s22, v1
	v_mul_hi_u32 v5, v1, v5
	v_add_u32_e32 v1, v1, v5
	v_mul_hi_u32 v1, v6, v1
	v_mul_lo_u32 v5, v1, s20
	v_sub_u32_e32 v5, v6, v5
	v_add_u32_e32 v8, 1, v1
	v_subrev_u32_e32 v9, s20, v5
	v_cmp_le_u32_e32 vcc, s20, v5
	s_nop 1
	v_cndmask_b32_e32 v5, v5, v9, vcc
	v_cndmask_b32_e32 v1, v1, v8, vcc
	v_add_u32_e32 v8, 1, v1
	v_cmp_le_u32_e32 vcc, s20, v5
	v_mov_b32_e32 v9, v4
	s_nop 0
	v_cndmask_b32_e32 v8, v1, v8, vcc
.LBB0_6:                                ;   in Loop: Header=BB0_2 Depth=1
	s_or_b64 exec, exec, s[2:3]
	v_mad_u64_u32 v[10:11], s[2:3], v8, s20, 0
	s_load_dwordx2 s[2:3], s[14:15], 0x0
	v_mul_lo_u32 v1, v9, s20
	v_mul_lo_u32 v5, v8, s21
	v_add3_u32 v1, v11, v5, v1
	v_sub_co_u32_e32 v5, vcc, v6, v10
	s_add_u32 s16, s16, 1
	s_nop 0
	v_subb_co_u32_e32 v1, vcc, v7, v1, vcc
	s_addc_u32 s17, s17, 0
	s_waitcnt lgkmcnt(0)
	v_mul_lo_u32 v1, s2, v1
	v_mul_lo_u32 v6, s3, v5
	v_mad_u64_u32 v[2:3], s[2:3], s2, v5, v[2:3]
	s_add_u32 s14, s14, 8
	v_add3_u32 v3, v6, v3, v1
	s_addc_u32 s15, s15, 0
	v_mov_b64_e32 v[6:7], s[6:7]
	s_add_u32 s18, s18, 8
	v_cmp_ge_u64_e32 vcc, s[16:17], v[6:7]
	s_addc_u32 s19, s19, 0
	s_cbranch_vccnz .LBB0_9
; %bb.7:                                ;   in Loop: Header=BB0_2 Depth=1
	v_mov_b64_e32 v[6:7], v[8:9]
	s_branch .LBB0_2
.LBB0_8:
	v_mov_b64_e32 v[8:9], v[6:7]
.LBB0_9:
	s_lshl_b64 s[2:3], s[6:7], 3
	s_add_u32 s2, s12, s2
	s_addc_u32 s3, s13, s3
	s_load_dwordx2 s[6:7], s[2:3], 0x0
	s_load_dwordx2 s[12:13], s[0:1], 0x20
	s_mov_b32 s2, 0x4104105
                                        ; implicit-def: $vgpr144_vgpr145
                                        ; implicit-def: $vgpr142_vgpr143
                                        ; implicit-def: $vgpr170
                                        ; implicit-def: $vgpr168
                                        ; implicit-def: $vgpr169
	s_waitcnt lgkmcnt(0)
	v_mul_lo_u32 v1, s6, v9
	v_mul_lo_u32 v4, s7, v8
	v_mad_u64_u32 v[2:3], s[0:1], s6, v8, v[2:3]
	v_add3_u32 v3, v4, v3, v1
	v_mul_hi_u32 v1, v0, s2
	v_mul_u32_u24_e32 v1, 63, v1
	v_sub_u32_e32 v166, v0, v1
	v_cmp_gt_u64_e32 vcc, s[12:13], v[8:9]
	v_cmp_le_u64_e64 s[0:1], s[12:13], v[8:9]
	v_add_u32_e32 v167, 63, v166
	s_and_saveexec_b64 s[2:3], s[0:1]
	s_xor_b64 s[0:1], exec, s[2:3]
; %bb.10:
	v_add_u32_e32 v170, 63, v166
	v_add_u32_e32 v168, 0x7e, v166
	;; [unrolled: 1-line block ×7, first 2 shown]
; %bb.11:
	s_or_saveexec_b64 s[2:3], s[0:1]
	v_lshl_add_u64 v[140:141], v[2:3], 4, s[10:11]
                                        ; implicit-def: $vgpr86_vgpr87
                                        ; implicit-def: $vgpr66_vgpr67
                                        ; implicit-def: $vgpr2_vgpr3
                                        ; implicit-def: $vgpr46_vgpr47
                                        ; implicit-def: $vgpr42_vgpr43
                                        ; implicit-def: $vgpr26_vgpr27
                                        ; implicit-def: $vgpr62_vgpr63
                                        ; implicit-def: $vgpr58_vgpr59
                                        ; implicit-def: $vgpr18_vgpr19
                                        ; implicit-def: $vgpr54_vgpr55
                                        ; implicit-def: $vgpr50_vgpr51
                                        ; implicit-def: $vgpr22_vgpr23
                                        ; implicit-def: $vgpr74_vgpr75
                                        ; implicit-def: $vgpr70_vgpr71
                                        ; implicit-def: $vgpr30_vgpr31
                                        ; implicit-def: $vgpr82_vgpr83
                                        ; implicit-def: $vgpr78_vgpr79
                                        ; implicit-def: $vgpr34_vgpr35
                                        ; implicit-def: $vgpr94_vgpr95
                                        ; implicit-def: $vgpr90_vgpr91
                                        ; implicit-def: $vgpr38_vgpr39
                                        ; implicit-def: $vgpr106_vgpr107
                                        ; implicit-def: $vgpr102_vgpr103
                                        ; implicit-def: $vgpr14_vgpr15
                                        ; implicit-def: $vgpr98_vgpr99
                                        ; implicit-def: $vgpr10_vgpr11
                                        ; implicit-def: $vgpr6_vgpr7
	s_xor_b64 exec, exec, s[2:3]
	s_cbranch_execz .LBB0_15
; %bb.12:
	v_mad_u64_u32 v[0:1], s[0:1], s8, v166, 0
	v_mov_b32_e32 v2, v1
	v_mad_u64_u32 v[2:3], s[0:1], s9, v166, v[2:3]
	v_add_u32_e32 v5, 0x20d, v166
	v_mov_b32_e32 v1, v2
	v_mad_u64_u32 v[2:3], s[0:1], s8, v5, 0
	v_mov_b32_e32 v4, v3
	v_mad_u64_u32 v[4:5], s[0:1], s9, v5, v[4:5]
	v_mov_b32_e32 v3, v4
	v_lshl_add_u64 v[0:1], v[0:1], 4, v[140:141]
	v_lshl_add_u64 v[2:3], v[2:3], 4, v[140:141]
	global_load_dwordx4 v[4:7], v[0:1], off
	global_load_dwordx4 v[8:11], v[2:3], off
	v_add_u32_e32 v3, 0x41a, v166
	v_mad_u64_u32 v[0:1], s[0:1], s8, v3, 0
	v_mov_b32_e32 v2, v1
	v_mad_u64_u32 v[2:3], s[0:1], s9, v3, v[2:3]
	v_mov_b32_e32 v1, v2
	;; [unrolled: 2-line block ×3, first 2 shown]
	v_mad_u64_u32 v[12:13], s[0:1], s9, v167, v[12:13]
	v_add_u32_e32 v13, 0x24c, v166
	v_mad_u64_u32 v[16:17], s[0:1], s8, v13, 0
	v_mov_b32_e32 v3, v12
	v_mov_b32_e32 v12, v17
	v_mad_u64_u32 v[12:13], s[0:1], s9, v13, v[12:13]
	v_add_u32_e32 v13, 0x459, v166
	v_mad_u64_u32 v[18:19], s[0:1], s8, v13, 0
	v_mov_b32_e32 v17, v12
	v_mov_b32_e32 v12, v19
	v_add_u32_e32 v168, 0x7e, v166
	v_mad_u64_u32 v[12:13], s[0:1], s9, v13, v[12:13]
	v_mad_u64_u32 v[20:21], s[0:1], s8, v168, 0
	v_mov_b32_e32 v19, v12
	v_mov_b32_e32 v12, v21
	v_mad_u64_u32 v[12:13], s[0:1], s9, v168, v[12:13]
	v_add_u32_e32 v13, 0x28b, v166
	v_mad_u64_u32 v[22:23], s[0:1], s8, v13, 0
	v_mov_b32_e32 v21, v12
	v_mov_b32_e32 v12, v23
	v_mad_u64_u32 v[12:13], s[0:1], s9, v13, v[12:13]
	v_add_u32_e32 v13, 0x498, v166
	v_mad_u64_u32 v[24:25], s[0:1], s8, v13, 0
	v_mov_b32_e32 v23, v12
	v_mov_b32_e32 v12, v25
	v_add_u32_e32 v169, 0xbd, v166
	v_mad_u64_u32 v[12:13], s[0:1], s9, v13, v[12:13]
	v_mad_u64_u32 v[26:27], s[0:1], s8, v169, 0
	v_mov_b32_e32 v25, v12
	v_mov_b32_e32 v12, v27
	;; [unrolled: 15-line block ×3, first 2 shown]
	v_mad_u64_u32 v[12:13], s[0:1], s9, v143, v[12:13]
	v_add_u32_e32 v13, 0x309, v166
	v_mad_u64_u32 v[34:35], s[0:1], s8, v13, 0
	v_mov_b32_e32 v33, v12
	v_mov_b32_e32 v12, v35
	v_mad_u64_u32 v[12:13], s[0:1], s9, v13, v[12:13]
	v_add_u32_e32 v13, 0x516, v166
	v_mad_u64_u32 v[36:37], s[0:1], s8, v13, 0
	v_add_u32_e32 v142, 0x13b, v166
	v_mov_b32_e32 v35, v12
	v_mov_b32_e32 v12, v37
	v_mad_u64_u32 v[12:13], s[0:1], s9, v13, v[12:13]
	v_mad_u64_u32 v[38:39], s[0:1], s8, v142, 0
	v_mov_b32_e32 v37, v12
	v_mov_b32_e32 v12, v39
	v_mad_u64_u32 v[12:13], s[0:1], s9, v142, v[12:13]
	v_add_u32_e32 v13, 0x348, v166
	v_mad_u64_u32 v[40:41], s[0:1], s8, v13, 0
	v_mov_b32_e32 v39, v12
	v_mov_b32_e32 v12, v41
	v_mad_u64_u32 v[12:13], s[0:1], s9, v13, v[12:13]
	v_add_u32_e32 v13, 0x555, v166
	v_mad_u64_u32 v[42:43], s[0:1], s8, v13, 0
	v_mov_b32_e32 v41, v12
	v_mov_b32_e32 v12, v43
	v_add_u32_e32 v144, 0x17a, v166
	v_mad_u64_u32 v[12:13], s[0:1], s9, v13, v[12:13]
	v_mad_u64_u32 v[44:45], s[0:1], s8, v144, 0
	v_mov_b32_e32 v43, v12
	v_mov_b32_e32 v12, v45
	v_mad_u64_u32 v[12:13], s[0:1], s9, v144, v[12:13]
	v_add_u32_e32 v13, 0x387, v166
	v_mad_u64_u32 v[46:47], s[0:1], s8, v13, 0
	v_mov_b32_e32 v45, v12
	v_mov_b32_e32 v12, v47
	v_mad_u64_u32 v[12:13], s[0:1], s9, v13, v[12:13]
	v_add_u32_e32 v13, 0x594, v166
	v_mad_u64_u32 v[48:49], s[0:1], s8, v13, 0
	v_add_u32_e32 v145, 0x1b9, v166
	v_mov_b32_e32 v47, v12
	v_mov_b32_e32 v12, v49
	v_mad_u64_u32 v[12:13], s[0:1], s9, v13, v[12:13]
	v_mad_u64_u32 v[50:51], s[0:1], s8, v145, 0
	v_mov_b32_e32 v49, v12
	v_mov_b32_e32 v12, v51
	v_mad_u64_u32 v[12:13], s[0:1], s9, v145, v[12:13]
	v_add_u32_e32 v13, 0x3c6, v166
	v_mad_u64_u32 v[52:53], s[0:1], s8, v13, 0
	v_mov_b32_e32 v51, v12
	v_mov_b32_e32 v12, v53
	v_mad_u64_u32 v[12:13], s[0:1], s9, v13, v[12:13]
	v_add_u32_e32 v13, 0x5d3, v166
	v_mad_u64_u32 v[54:55], s[0:1], s8, v13, 0
	v_mov_b32_e32 v53, v12
	v_mov_b32_e32 v12, v55
	v_lshl_add_u64 v[0:1], v[0:1], 4, v[140:141]
	v_mad_u64_u32 v[56:57], s[0:1], s9, v13, v[12:13]
	v_lshl_add_u64 v[2:3], v[2:3], 4, v[140:141]
	global_load_dwordx4 v[96:99], v[0:1], off
	global_load_dwordx4 v[12:15], v[2:3], off
	v_lshl_add_u64 v[0:1], v[16:17], 4, v[140:141]
	v_lshl_add_u64 v[58:59], v[20:21], 4, v[140:141]
	;; [unrolled: 1-line block ×9, first 2 shown]
	v_mov_b32_e32 v55, v56
	v_lshl_add_u64 v[2:3], v[18:19], 4, v[140:141]
	v_lshl_add_u64 v[64:65], v[30:31], 4, v[140:141]
	;; [unrolled: 1-line block ×11, first 2 shown]
	global_load_dwordx4 v[100:103], v[0:1], off
	global_load_dwordx4 v[104:107], v[2:3], off
	;; [unrolled: 1-line block ×15, first 2 shown]
                                        ; kill: killed $vgpr64_vgpr65
                                        ; kill: killed $vgpr40_vgpr41
                                        ; kill: killed $vgpr66_vgpr67
                                        ; kill: killed $vgpr62_vgpr63
                                        ; kill: killed $vgpr24_vgpr25
                                        ; kill: killed $vgpr108_vgpr109
                                        ; kill: killed $vgpr86_vgpr87
                                        ; kill: killed $vgpr26_vgpr27
                                        ; kill: killed $vgpr60_vgpr61
                                        ; kill: killed $vgpr2_vgpr3
                                        ; kill: killed $vgpr42_vgpr43
                                        ; kill: killed $vgpr84_vgpr85
                                        ; kill: killed $vgpr44_vgpr45
                                        ; kill: killed $vgpr58_vgpr59
                                        ; kill: killed $vgpr0_vgpr1
	global_load_dwordx4 v[56:59], v[110:111], off
	global_load_dwordx4 v[60:63], v[112:113], off
	;; [unrolled: 1-line block ×3, first 2 shown]
	s_nop 0
	global_load_dwordx4 v[40:43], v[116:117], off
	global_load_dwordx4 v[44:47], v[118:119], off
	v_cmp_gt_u32_e64 s[0:1], 21, v166
                                        ; implicit-def: $vgpr0_vgpr1
                                        ; implicit-def: $vgpr64_vgpr65
                                        ; implicit-def: $vgpr84_vgpr85
	s_and_saveexec_b64 s[6:7], s[0:1]
	s_cbranch_execz .LBB0_14
; %bb.13:
	v_add_u32_e32 v3, 0x1f8, v166
	v_mad_u64_u32 v[0:1], s[0:1], s8, v3, 0
	v_mov_b32_e32 v2, v1
	v_mad_u64_u32 v[2:3], s[0:1], s9, v3, v[2:3]
	v_mov_b32_e32 v1, v2
	v_add_u32_e32 v3, 0x405, v166
	v_lshl_add_u64 v[84:85], v[0:1], 4, v[140:141]
	v_mad_u64_u32 v[0:1], s[0:1], s8, v3, 0
	v_mov_b32_e32 v2, v1
	v_mad_u64_u32 v[2:3], s[0:1], s9, v3, v[2:3]
	v_mov_b32_e32 v1, v2
	v_lshl_add_u64 v[86:87], v[0:1], 4, v[140:141]
	global_load_dwordx4 v[0:3], v[84:85], off
	global_load_dwordx4 v[64:67], v[86:87], off
	v_add_u32_e32 v87, 0x612, v166
	v_mad_u64_u32 v[84:85], s[0:1], s8, v87, 0
	v_mov_b32_e32 v86, v85
	v_mad_u64_u32 v[86:87], s[0:1], s9, v87, v[86:87]
	v_mov_b32_e32 v85, v86
	v_lshl_add_u64 v[84:85], v[84:85], 4, v[140:141]
	global_load_dwordx4 v[84:87], v[84:85], off
.LBB0_14:
	s_or_b64 exec, exec, s[6:7]
	v_mov_b32_e32 v170, v167
.LBB0_15:
	s_or_b64 exec, exec, s[2:3]
	s_waitcnt vmcnt(21)
	v_add_f64 v[110:111], v[96:97], v[8:9]
	s_mov_b32 s0, 0xe8584caa
	v_add_f64 v[108:109], v[8:9], v[4:5]
	v_fmac_f64_e32 v[4:5], -0.5, v[110:111]
	v_add_f64 v[110:111], v[10:11], -v[98:99]
	s_mov_b32 s1, 0xbfebb67a
	v_add_f64 v[108:109], v[96:97], v[108:109]
	v_fma_f64 v[112:113], s[0:1], v[110:111], v[4:5]
	s_mov_b32 s3, 0x3febb67a
	s_mov_b32 s2, s0
	s_waitcnt vmcnt(18)
	v_add_f64 v[114:115], v[104:105], v[100:101]
	v_mad_u32_u24 v116, v166, 24, 0
	v_fmac_f64_e32 v[4:5], s[2:3], v[110:111]
	v_add_f64 v[110:111], v[100:101], v[12:13]
	v_fmac_f64_e32 v[12:13], -0.5, v[114:115]
	ds_write2_b64 v116, v[108:109], v[112:113] offset1:1
	v_add_f64 v[108:109], v[102:103], -v[106:107]
	v_fma_f64 v[112:113], s[0:1], v[108:109], v[12:13]
	s_waitcnt vmcnt(15)
	v_add_f64 v[114:115], v[92:93], v[88:89]
	v_add_f64 v[110:111], v[104:105], v[110:111]
	ds_write_b64 v116, v[4:5] offset:16
	v_mad_i32_i24 v4, v170, 24, 0
	v_fmac_f64_e32 v[12:13], s[2:3], v[108:109]
	v_add_f64 v[108:109], v[88:89], v[36:37]
	v_fmac_f64_e32 v[36:37], -0.5, v[114:115]
	ds_write2_b64 v4, v[110:111], v[112:113] offset1:1
	v_add_f64 v[110:111], v[90:91], -v[94:95]
	s_waitcnt vmcnt(12)
	v_add_f64 v[114:115], v[80:81], v[76:77]
	v_fma_f64 v[112:113], s[0:1], v[110:111], v[36:37]
	v_fmac_f64_e32 v[36:37], s[2:3], v[110:111]
	v_add_f64 v[110:111], v[76:77], v[32:33]
	v_fmac_f64_e32 v[32:33], -0.5, v[114:115]
	v_add_f64 v[108:109], v[92:93], v[108:109]
	ds_write_b64 v4, v[12:13] offset:16
	v_mad_i32_i24 v5, v168, 24, 0
	v_add_f64 v[12:13], v[78:79], -v[82:83]
	v_add_f64 v[110:111], v[80:81], v[110:111]
	ds_write2_b64 v5, v[108:109], v[112:113] offset1:1
	v_fma_f64 v[108:109], s[0:1], v[12:13], v[32:33]
	v_fmac_f64_e32 v[32:33], s[2:3], v[12:13]
	v_mad_i32_i24 v12, v169, 24, 0
	ds_write_b64 v5, v[36:37] offset:16
	ds_write2_b64 v12, v[110:111], v[108:109] offset1:1
	s_waitcnt vmcnt(9)
	v_add_f64 v[108:109], v[72:73], v[68:69]
	v_add_f64 v[36:37], v[68:69], v[28:29]
	v_fmac_f64_e32 v[28:29], -0.5, v[108:109]
	v_add_f64 v[108:109], v[70:71], -v[74:75]
	v_fma_f64 v[110:111], s[0:1], v[108:109], v[28:29]
	v_add_f64 v[36:37], v[72:73], v[36:37]
	v_mad_i32_i24 v13, v143, 24, 0
	ds_write_b64 v12, v[32:33] offset:16
	ds_write2_b64 v13, v[36:37], v[110:111] offset1:1
	s_waitcnt vmcnt(6)
	v_add_f64 v[36:37], v[52:53], v[48:49]
	v_fmac_f64_e32 v[28:29], s[2:3], v[108:109]
	v_add_f64 v[32:33], v[48:49], v[20:21]
	v_fmac_f64_e32 v[20:21], -0.5, v[36:37]
	v_add_f64 v[108:109], v[50:51], -v[54:55]
	v_add_f64 v[32:33], v[52:53], v[32:33]
	ds_write_b64 v13, v[28:29] offset:16
	v_mad_i32_i24 v36, v142, 24, 0
	v_fma_f64 v[28:29], s[0:1], v[108:109], v[20:21]
	ds_write2_b64 v36, v[32:33], v[28:29] offset1:1
	v_fmac_f64_e32 v[20:21], s[2:3], v[108:109]
	s_waitcnt vmcnt(3)
	v_add_f64 v[32:33], v[60:61], v[56:57]
	v_add_f64 v[28:29], v[56:57], v[16:17]
	v_fmac_f64_e32 v[16:17], -0.5, v[32:33]
	ds_write_b64 v36, v[20:21] offset:16
	v_add_f64 v[20:21], v[58:59], -v[62:63]
	v_add_f64 v[28:29], v[60:61], v[28:29]
	v_mad_i32_i24 v37, v144, 24, 0
	v_fma_f64 v[32:33], s[0:1], v[20:21], v[16:17]
	ds_write2_b64 v37, v[28:29], v[32:33] offset1:1
	v_fmac_f64_e32 v[16:17], s[2:3], v[20:21]
	s_waitcnt vmcnt(0)
	v_add_f64 v[28:29], v[44:45], v[40:41]
	v_add_f64 v[20:21], v[40:41], v[24:25]
	v_fmac_f64_e32 v[24:25], -0.5, v[28:29]
	ds_write_b64 v37, v[16:17] offset:16
	v_add_f64 v[16:17], v[42:43], -v[46:47]
	v_add_f64 v[20:21], v[44:45], v[20:21]
	v_mad_i32_i24 v178, v145, 24, 0
	v_fma_f64 v[28:29], s[0:1], v[16:17], v[24:25]
	ds_write2_b64 v178, v[20:21], v[28:29] offset1:1
	v_fmac_f64_e32 v[24:25], s[2:3], v[16:17]
	v_add_f64 v[16:17], v[64:65], v[0:1]
	v_add_f64 v[20:21], v[84:85], v[64:65]
	v_fmac_f64_e32 v[0:1], -0.5, v[20:21]
	v_add_f64 v[20:21], v[66:67], -v[86:87]
	v_add_f64 v[146:147], v[84:85], v[16:17]
	v_mul_u32_u24_e32 v16, 24, v166
	v_fma_f64 v[164:165], s[0:1], v[20:21], v[0:1]
	v_fmac_f64_e32 v[0:1], s[2:3], v[20:21]
	v_cmp_gt_u32_e64 s[0:1], 21, v166
	v_add_u32_e32 v16, 0, v16
	ds_write_b64 v178, v[24:25] offset:16
	s_and_saveexec_b64 s[2:3], s[0:1]
	s_cbranch_execz .LBB0_17
; %bb.16:
	v_add_u32_e32 v17, 0x2f40, v16
	ds_write2_b64 v17, v[146:147], v[164:165] offset1:1
	ds_write_b64 v16, v[0:1] offset:12112
.LBB0_17:
	s_or_b64 exec, exec, s[2:3]
	v_lshl_add_u32 v172, v166, 3, 0
	v_add_u32_e32 v21, 0x1000, v172
	v_add_u32_e32 v24, 0x2000, v172
	v_lshlrev_b32_e32 v17, 4, v170
	v_lshlrev_b32_e32 v20, 4, v168
	s_waitcnt lgkmcnt(0)
	; wave barrier
	s_waitcnt lgkmcnt(0)
	ds_read2_b64 v[132:135], v21 offset0:13 offset1:76
	ds_read2_b64 v[136:139], v24 offset0:26 offset1:89
	v_sub_u32_e32 v25, v4, v17
	v_sub_u32_e32 v28, v5, v20
	ds_read2_b64 v[128:131], v21 offset0:139 offset1:202
	ds_read2_b64 v[124:127], v24 offset0:152 offset1:215
	v_lshlrev_b32_e32 v24, 4, v169
	v_sub_u32_e32 v21, v12, v24
	ds_read_b64 v[162:163], v172
	ds_read_b64 v[158:159], v25
	;; [unrolled: 1-line block ×4, first 2 shown]
	v_lshlrev_b32_e32 v25, 4, v143
	v_add_u32_e32 v32, 0x1800, v172
	v_add_u32_e32 v33, 0x2800, v172
	v_lshlrev_b32_e32 v28, 4, v142
	v_lshlrev_b32_e32 v29, 4, v144
	v_sub_u32_e32 v21, v13, v25
	ds_read2_b64 v[120:123], v32 offset0:9 offset1:72
	ds_read2_b64 v[116:119], v33 offset0:22 offset1:85
	v_sub_u32_e32 v148, v36, v28
	v_sub_u32_e32 v149, v37, v29
	ds_read2_b64 v[112:115], v32 offset0:135 offset1:198
	ds_read2_b64 v[108:111], v33 offset0:148 offset1:211
	v_lshlrev_b32_e32 v32, 4, v145
	v_sub_u32_e32 v33, v178, v32
	ds_read_b64 v[160:161], v21
	ds_read_b64 v[156:157], v148
	;; [unrolled: 1-line block ×4, first 2 shown]
	s_and_saveexec_b64 s[2:3], s[0:1]
	s_cbranch_execz .LBB0_19
; %bb.18:
	ds_read_b64 v[146:147], v172 offset:4032
	ds_read_b64 v[164:165], v172 offset:8232
	;; [unrolled: 1-line block ×3, first 2 shown]
.LBB0_19:
	s_or_b64 exec, exec, s[2:3]
	v_sub_u32_e32 v21, 0, v17
	v_sub_u32_e32 v175, 0, v24
	;; [unrolled: 1-line block ×3, first 2 shown]
	v_add_f64 v[24:25], v[10:11], v[6:7]
	v_add_f64 v[10:11], v[98:99], v[10:11]
	s_mov_b32 s2, 0xe8584caa
	v_sub_u32_e32 v177, 0, v28
	v_sub_u32_e32 v180, 0, v29
	v_fmac_f64_e32 v[6:7], -0.5, v[10:11]
	v_add_f64 v[8:9], v[8:9], -v[96:97]
	s_mov_b32 s3, 0x3febb67a
	s_mov_b32 s7, 0xbfebb67a
	s_mov_b32 s6, s2
	v_add_f64 v[28:29], v[106:107], v[102:103]
	v_fma_f64 v[10:11], s[2:3], v[8:9], v[6:7]
	v_fmac_f64_e32 v[6:7], s[6:7], v[8:9]
	v_add_f64 v[8:9], v[102:103], v[14:15]
	v_fmac_f64_e32 v[14:15], -0.5, v[28:29]
	v_add_f64 v[28:29], v[100:101], -v[104:105]
	v_sub_u32_e32 v179, 0, v32
	v_fma_f64 v[32:33], s[2:3], v[28:29], v[14:15]
	v_fmac_f64_e32 v[14:15], s[6:7], v[28:29]
	v_add_f64 v[28:29], v[90:91], v[38:39]
	v_add_f64 v[90:91], v[94:95], v[90:91]
	v_fmac_f64_e32 v[38:39], -0.5, v[90:91]
	v_add_f64 v[88:89], v[88:89], -v[92:93]
	v_fma_f64 v[90:91], s[2:3], v[88:89], v[38:39]
	v_fmac_f64_e32 v[38:39], s[6:7], v[88:89]
	v_add_f64 v[88:89], v[78:79], v[34:35]
	v_add_f64 v[78:79], v[82:83], v[78:79]
	v_fmac_f64_e32 v[34:35], -0.5, v[78:79]
	v_add_f64 v[76:77], v[76:77], -v[80:81]
	v_fma_f64 v[78:79], s[2:3], v[76:77], v[34:35]
	v_fmac_f64_e32 v[34:35], s[6:7], v[76:77]
	v_add_f64 v[76:77], v[70:71], v[30:31]
	v_add_f64 v[70:71], v[74:75], v[70:71]
	v_fmac_f64_e32 v[30:31], -0.5, v[70:71]
	v_add_f64 v[68:69], v[68:69], -v[72:73]
	v_fma_f64 v[70:71], s[2:3], v[68:69], v[30:31]
	v_fmac_f64_e32 v[30:31], s[6:7], v[68:69]
	v_add_f64 v[68:69], v[50:51], v[22:23]
	v_add_f64 v[50:51], v[54:55], v[50:51]
	v_fmac_f64_e32 v[22:23], -0.5, v[50:51]
	v_add_f64 v[48:49], v[48:49], -v[52:53]
	v_add_f64 v[52:53], v[62:63], v[58:59]
	v_fma_f64 v[50:51], s[2:3], v[48:49], v[22:23]
	v_fmac_f64_e32 v[22:23], s[6:7], v[48:49]
	v_add_f64 v[48:49], v[58:59], v[18:19]
	v_fmac_f64_e32 v[18:19], -0.5, v[52:53]
	v_add_f64 v[52:53], v[56:57], -v[60:61]
	v_add_f64 v[72:73], v[54:55], v[68:69]
	v_fma_f64 v[54:55], s[2:3], v[52:53], v[18:19]
	v_fmac_f64_e32 v[18:19], s[6:7], v[52:53]
	v_add_f64 v[52:53], v[42:43], v[26:27]
	v_add_f64 v[42:43], v[46:47], v[42:43]
	v_fmac_f64_e32 v[26:27], -0.5, v[42:43]
	v_add_f64 v[40:41], v[40:41], -v[44:45]
	v_fma_f64 v[42:43], s[2:3], v[40:41], v[26:27]
	v_fmac_f64_e32 v[26:27], s[6:7], v[40:41]
	v_add_f64 v[40:41], v[66:67], v[2:3]
	v_add_f64 v[56:57], v[46:47], v[52:53]
	v_add_f64 v[52:53], v[86:87], v[40:41]
	v_add_f64 v[40:41], v[86:87], v[66:67]
	v_fmac_f64_e32 v[2:3], -0.5, v[40:41]
	v_add_f64 v[40:41], v[64:65], -v[84:85]
	v_sub_u32_e32 v20, 0, v20
	v_add_f64 v[24:25], v[98:99], v[24:25]
	v_fma_f64 v[68:69], s[2:3], v[40:41], v[2:3]
	v_fmac_f64_e32 v[2:3], s[6:7], v[40:41]
	v_add_u32_e32 v171, 0x1f8, v166
	v_add_f64 v[8:9], v[106:107], v[8:9]
	v_add_f64 v[28:29], v[94:95], v[28:29]
	;; [unrolled: 1-line block ×5, first 2 shown]
	s_waitcnt lgkmcnt(0)
	; wave barrier
	s_waitcnt lgkmcnt(0)
	ds_write2_b64 v16, v[24:25], v[10:11] offset1:1
	ds_write_b64 v16, v[6:7] offset:16
	ds_write2_b64 v4, v[8:9], v[32:33] offset1:1
	ds_write_b64 v4, v[14:15] offset:16
	ds_write2_b64 v5, v[28:29], v[90:91] offset1:1
	ds_write_b64 v5, v[38:39] offset:16
	ds_write2_b64 v12, v[88:89], v[78:79] offset1:1
	ds_write_b64 v12, v[34:35] offset:16
	ds_write2_b64 v13, v[76:77], v[70:71] offset1:1
	ds_write_b64 v13, v[30:31] offset:16
	ds_write2_b64 v36, v[72:73], v[50:51] offset1:1
	ds_write_b64 v36, v[22:23] offset:16
	ds_write2_b64 v37, v[48:49], v[54:55] offset1:1
	ds_write_b64 v37, v[18:19] offset:16
	ds_write2_b64 v178, v[56:57], v[42:43] offset1:1
	ds_write_b64 v178, v[26:27] offset:16
	s_and_saveexec_b64 s[2:3], s[0:1]
	s_cbranch_execz .LBB0_21
; %bb.20:
	v_mad_u32_u24 v6, v171, 24, 0
	ds_write2_b64 v6, v[52:53], v[68:69] offset1:1
	ds_write_b64 v6, v[2:3] offset:16
.LBB0_21:
	s_or_b64 exec, exec, s[2:3]
	v_add_u32_e32 v6, 0x1000, v172
	v_add_u32_e32 v7, 0x2000, v172
	;; [unrolled: 1-line block ×7, first 2 shown]
	s_waitcnt lgkmcnt(0)
	; wave barrier
	s_waitcnt lgkmcnt(0)
	ds_read2_b64 v[28:31], v6 offset0:13 offset1:76
	ds_read2_b64 v[32:35], v7 offset0:26 offset1:89
	;; [unrolled: 1-line block ×4, first 2 shown]
	v_add_u32_e32 v175, v12, v175
	ds_read_b64 v[60:61], v172
	ds_read_b64 v[58:59], v173
	;; [unrolled: 1-line block ×4, first 2 shown]
	ds_read2_b64 v[16:19], v4 offset0:9 offset1:72
	ds_read2_b64 v[12:15], v5 offset0:22 offset1:85
	v_add_u32_e32 v177, v36, v177
	v_add_u32_e32 v36, v37, v180
	ds_read2_b64 v[8:11], v4 offset0:135 offset1:198
	ds_read2_b64 v[4:7], v5 offset0:148 offset1:211
	v_add_u32_e32 v37, v178, v179
	ds_read_b64 v[72:73], v176
	ds_read_b64 v[66:67], v177
	;; [unrolled: 1-line block ×4, first 2 shown]
	s_and_saveexec_b64 s[2:3], s[0:1]
	s_cbranch_execz .LBB0_23
; %bb.22:
	ds_read_b64 v[52:53], v172 offset:4032
	ds_read_b64 v[68:69], v172 offset:8232
	;; [unrolled: 1-line block ×3, first 2 shown]
.LBB0_23:
	s_or_b64 exec, exec, s[2:3]
	s_movk_i32 s2, 0xab
	v_mul_lo_u16_sdwa v36, v166, s2 dst_sel:DWORD dst_unused:UNUSED_PAD src0_sel:BYTE_0 src1_sel:DWORD
	v_mul_lo_u16_sdwa v44, v170, s2 dst_sel:DWORD dst_unused:UNUSED_PAD src0_sel:BYTE_0 src1_sel:DWORD
	;; [unrolled: 1-line block ×3, first 2 shown]
	v_lshrrev_b16_e32 v214, 9, v36
	v_lshrrev_b16_e32 v216, 9, v44
	;; [unrolled: 1-line block ×3, first 2 shown]
	v_mul_lo_u16_e32 v36, 3, v214
	v_mul_lo_u16_e32 v44, 3, v216
	;; [unrolled: 1-line block ×3, first 2 shown]
	v_sub_u16_e32 v215, v166, v36
	v_mov_b32_e32 v70, 5
	v_sub_u16_e32 v217, v170, v44
	v_sub_u16_e32 v219, v168, v71
	v_lshlrev_b32_sdwa v40, v70, v215 dst_sel:DWORD dst_unused:UNUSED_PAD src0_sel:DWORD src1_sel:BYTE_0
	v_lshlrev_b32_sdwa v48, v70, v217 dst_sel:DWORD dst_unused:UNUSED_PAD src0_sel:DWORD src1_sel:BYTE_0
	;; [unrolled: 1-line block ×3, first 2 shown]
	global_load_dwordx4 v[36:39], v40, s[4:5] offset:16
	s_nop 0
	global_load_dwordx4 v[40:43], v40, s[4:5]
	s_nop 0
	global_load_dwordx4 v[44:47], v48, s[4:5] offset:16
	s_nop 0
	global_load_dwordx4 v[48:51], v48, s[4:5]
	s_nop 0
	global_load_dwordx4 v[80:83], v71, s[4:5]
	global_load_dwordx4 v[84:87], v71, s[4:5] offset:16
	v_mul_lo_u16_sdwa v71, v169, s2 dst_sel:DWORD dst_unused:UNUSED_PAD src0_sel:BYTE_0 src1_sel:DWORD
	v_lshrrev_b16_e32 v220, 9, v71
	v_mul_lo_u16_e32 v71, 3, v220
	v_sub_u16_e32 v221, v169, v71
	v_lshlrev_b32_sdwa v70, v70, v221 dst_sel:DWORD dst_unused:UNUSED_PAD src0_sel:DWORD src1_sel:BYTE_0
	s_mov_b32 s2, 0xaaab
	global_load_dwordx4 v[96:99], v70, s[4:5]
	global_load_dwordx4 v[100:103], v70, s[4:5] offset:16
	v_mul_u32_u24_sdwa v70, v143, s2 dst_sel:DWORD dst_unused:UNUSED_PAD src0_sel:WORD_0 src1_sel:DWORD
	v_lshrrev_b32_e32 v222, 17, v70
	v_mul_lo_u16_e32 v70, 3, v222
	v_sub_u16_e32 v223, v143, v70
	v_lshlrev_b32_e32 v70, 5, v223
	global_load_dwordx4 v[104:107], v70, s[4:5]
	global_load_dwordx4 v[178:181], v70, s[4:5] offset:16
	v_mul_u32_u24_sdwa v70, v142, s2 dst_sel:DWORD dst_unused:UNUSED_PAD src0_sel:WORD_0 src1_sel:DWORD
	v_lshrrev_b32_e32 v224, 17, v70
	v_mul_lo_u16_e32 v70, 3, v224
	v_sub_u16_e32 v142, v142, v70
	v_lshlrev_b32_e32 v70, 5, v142
	;; [unrolled: 7-line block ×5, first 2 shown]
	global_load_dwordx4 v[206:209], v70, s[4:5]
	global_load_dwordx4 v[210:213], v70, s[4:5] offset:16
	s_mov_b32 s2, 0xe8584caa
	s_mov_b32 s3, 0xbfebb67a
	;; [unrolled: 1-line block ×4, first 2 shown]
	s_waitcnt lgkmcnt(0)
	; wave barrier
	s_waitcnt lgkmcnt(0)
	s_mov_b32 s11, 0x5040100
	s_movk_i32 s10, 0x48
	s_waitcnt vmcnt(17)
	v_mul_f64 v[78:79], v[32:33], v[38:39]
	v_mul_f64 v[88:89], v[136:137], v[38:39]
	s_waitcnt vmcnt(14)
	v_mul_f64 v[70:71], v[30:31], v[50:51]
	v_mul_f64 v[90:91], v[134:135], v[50:51]
	;; [unrolled: 1-line block ×4, first 2 shown]
	s_waitcnt vmcnt(13)
	v_mul_f64 v[38:39], v[24:25], v[82:83]
	v_mul_f64 v[82:83], v[128:129], v[82:83]
	v_fma_f64 v[94:95], v[32:33], v[36:37], -v[88:89]
	v_fma_f64 v[88:89], v[30:31], v[48:49], -v[90:91]
	;; [unrolled: 1-line block ×4, first 2 shown]
	s_waitcnt vmcnt(12)
	v_mul_f64 v[24:25], v[124:125], v[86:87]
	v_mul_f64 v[74:75], v[28:29], v[42:43]
	;; [unrolled: 1-line block ×4, first 2 shown]
	v_fma_f64 v[86:87], v[20:21], v[84:85], -v[24:25]
	s_waitcnt vmcnt(11)
	v_mul_f64 v[20:21], v[130:131], v[98:99]
	v_fmac_f64_e32 v[78:79], v[136:137], v[36:37]
	v_fma_f64 v[36:37], v[26:27], v[96:97], -v[20:21]
	s_waitcnt vmcnt(10)
	v_mul_f64 v[20:21], v[126:127], v[102:103]
	v_mul_f64 v[30:31], v[22:23], v[102:103]
	v_fma_f64 v[82:83], v[22:23], v[100:101], -v[20:21]
	s_waitcnt vmcnt(9)
	v_mul_f64 v[22:23], v[120:121], v[106:107]
	v_mul_f64 v[20:21], v[16:17], v[106:107]
	v_fma_f64 v[34:35], v[16:17], v[104:105], -v[22:23]
	s_waitcnt vmcnt(8)
	v_mul_f64 v[16:17], v[116:117], v[180:181]
	v_fmac_f64_e32 v[38:39], v[128:129], v[80:81]
	v_mul_f64 v[24:25], v[26:27], v[98:99]
	v_mul_f64 v[26:27], v[12:13], v[180:181]
	v_fma_f64 v[80:81], v[12:13], v[178:179], -v[16:17]
	s_waitcnt vmcnt(7)
	v_mul_f64 v[12:13], v[122:123], v[184:185]
	v_fma_f64 v[32:33], v[18:19], v[182:183], -v[12:13]
	s_waitcnt vmcnt(6)
	v_mul_f64 v[12:13], v[118:119], v[188:189]
	v_fmac_f64_e32 v[70:71], v[134:135], v[48:49]
	v_mul_f64 v[16:17], v[18:19], v[184:185]
	v_mul_f64 v[18:19], v[14:15], v[188:189]
	v_fma_f64 v[48:49], v[14:15], v[186:187], -v[12:13]
	s_waitcnt vmcnt(5)
	v_mul_f64 v[14:15], v[112:113], v[192:193]
	v_fma_f64 v[92:93], v[28:29], v[40:41], -v[76:77]
	v_mul_f64 v[12:13], v[8:9], v[192:193]
	v_fma_f64 v[28:29], v[8:9], v[190:191], -v[14:15]
	s_waitcnt vmcnt(4)
	v_mul_f64 v[8:9], v[108:109], v[196:197]
	v_fmac_f64_e32 v[50:51], v[138:139], v[44:45]
	v_fma_f64 v[44:45], v[4:5], v[194:195], -v[8:9]
	s_waitcnt vmcnt(3)
	v_mul_f64 v[8:9], v[114:115], v[200:201]
	s_waitcnt vmcnt(2)
	v_mul_f64 v[22:23], v[110:111], v[204:205]
	v_fmac_f64_e32 v[74:75], v[132:133], v[40:41]
	v_mul_f64 v[14:15], v[4:5], v[196:197]
	v_mul_f64 v[4:5], v[10:11], v[200:201]
	v_fma_f64 v[10:11], v[10:11], v[198:199], -v[8:9]
	v_mul_f64 v[8:9], v[6:7], v[204:205]
	v_fma_f64 v[40:41], v[6:7], v[202:203], -v[22:23]
	s_waitcnt vmcnt(1)
	v_mul_f64 v[6:7], v[164:165], v[208:209]
	v_fmac_f64_e32 v[42:43], v[124:125], v[84:85]
	v_mul_f64 v[84:85], v[68:69], v[208:209]
	v_fma_f64 v[22:23], v[68:69], v[206:207], -v[6:7]
	s_waitcnt vmcnt(0)
	v_mul_f64 v[68:69], v[2:3], v[212:213]
	v_fmac_f64_e32 v[68:69], v[0:1], v[210:211]
	v_mul_f64 v[0:1], v[0:1], v[212:213]
	v_fma_f64 v[76:77], v[2:3], v[210:211], -v[0:1]
	v_add_f64 v[0:1], v[162:163], v[74:75]
	v_add_f64 v[2:3], v[0:1], v[78:79]
	;; [unrolled: 1-line block ×3, first 2 shown]
	v_fmac_f64_e32 v[162:163], -0.5, v[0:1]
	v_add_f64 v[0:1], v[92:93], -v[94:95]
	v_fma_f64 v[98:99], s[2:3], v[0:1], v[162:163]
	v_fmac_f64_e32 v[162:163], s[6:7], v[0:1]
	v_add_f64 v[0:1], v[158:159], v[70:71]
	v_fmac_f64_e32 v[30:31], v[126:127], v[100:101]
	v_add_f64 v[100:101], v[0:1], v[50:51]
	v_add_f64 v[0:1], v[70:71], v[50:51]
	v_fmac_f64_e32 v[158:159], -0.5, v[0:1]
	v_add_f64 v[0:1], v[88:89], -v[90:91]
	v_fma_f64 v[102:103], s[2:3], v[0:1], v[158:159]
	v_fmac_f64_e32 v[158:159], s[6:7], v[0:1]
	v_add_f64 v[0:1], v[154:155], v[38:39]
	v_fmac_f64_e32 v[20:21], v[120:121], v[104:105]
	v_add_f64 v[104:105], v[0:1], v[42:43]
	v_add_f64 v[0:1], v[38:39], v[42:43]
	v_fmac_f64_e32 v[24:25], v[130:131], v[96:97]
	v_fmac_f64_e32 v[154:155], -0.5, v[0:1]
	v_add_f64 v[0:1], v[46:47], -v[86:87]
	v_fma_f64 v[106:107], s[2:3], v[0:1], v[154:155]
	v_fmac_f64_e32 v[154:155], s[6:7], v[0:1]
	v_add_f64 v[0:1], v[150:151], v[24:25]
	v_fmac_f64_e32 v[14:15], v[108:109], v[194:195]
	v_add_f64 v[108:109], v[0:1], v[30:31]
	v_add_f64 v[0:1], v[24:25], v[30:31]
	v_fmac_f64_e32 v[150:151], -0.5, v[0:1]
	v_add_f64 v[0:1], v[36:37], -v[82:83]
	v_fmac_f64_e32 v[26:27], v[116:117], v[178:179]
	v_fmac_f64_e32 v[8:9], v[110:111], v[202:203]
	v_fma_f64 v[110:111], s[2:3], v[0:1], v[150:151]
	v_fmac_f64_e32 v[150:151], s[6:7], v[0:1]
	v_add_f64 v[0:1], v[160:161], v[20:21]
	v_fmac_f64_e32 v[12:13], v[112:113], v[190:191]
	v_add_f64 v[112:113], v[0:1], v[26:27]
	v_add_f64 v[0:1], v[20:21], v[26:27]
	v_fmac_f64_e32 v[16:17], v[122:123], v[182:183]
	v_fmac_f64_e32 v[160:161], -0.5, v[0:1]
	v_add_f64 v[0:1], v[34:35], -v[80:81]
	v_fmac_f64_e32 v[18:19], v[118:119], v[186:187]
	v_fmac_f64_e32 v[4:5], v[114:115], v[198:199]
	v_fma_f64 v[114:115], s[2:3], v[0:1], v[160:161]
	v_fmac_f64_e32 v[160:161], s[6:7], v[0:1]
	v_add_f64 v[0:1], v[156:157], v[16:17]
	v_add_f64 v[116:117], v[0:1], v[18:19]
	;; [unrolled: 1-line block ×3, first 2 shown]
	v_fmac_f64_e32 v[156:157], -0.5, v[0:1]
	v_add_f64 v[0:1], v[32:33], -v[48:49]
	v_fma_f64 v[118:119], s[2:3], v[0:1], v[156:157]
	v_fmac_f64_e32 v[156:157], s[6:7], v[0:1]
	v_add_f64 v[0:1], v[152:153], v[12:13]
	v_add_f64 v[120:121], v[0:1], v[14:15]
	;; [unrolled: 1-line block ×3, first 2 shown]
	v_fmac_f64_e32 v[152:153], -0.5, v[0:1]
	v_add_f64 v[0:1], v[28:29], -v[44:45]
	v_fma_f64 v[122:123], s[2:3], v[0:1], v[152:153]
	v_fmac_f64_e32 v[152:153], s[6:7], v[0:1]
	v_add_f64 v[0:1], v[148:149], v[4:5]
	v_add_f64 v[124:125], v[0:1], v[8:9]
	;; [unrolled: 1-line block ×3, first 2 shown]
	v_fmac_f64_e32 v[84:85], v[164:165], v[206:207]
	v_fmac_f64_e32 v[148:149], -0.5, v[0:1]
	v_add_f64 v[0:1], v[10:11], -v[40:41]
	v_fma_f64 v[126:127], s[2:3], v[0:1], v[148:149]
	v_fmac_f64_e32 v[148:149], s[6:7], v[0:1]
	v_add_f64 v[0:1], v[84:85], v[68:69]
	v_fma_f64 v[0:1], -0.5, v[0:1], v[146:147]
	v_add_f64 v[96:97], v[22:23], -v[76:77]
	v_mov_b32_e32 v128, 3
	v_fma_f64 v[6:7], s[2:3], v[96:97], v[0:1]
	v_fmac_f64_e32 v[0:1], s[6:7], v[96:97]
	v_mul_u32_u24_e32 v96, 0x48, v214
	v_lshlrev_b32_sdwa v97, v128, v215 dst_sel:DWORD dst_unused:UNUSED_PAD src0_sel:DWORD src1_sel:BYTE_0
	v_add3_u32 v96, 0, v96, v97
	ds_write2_b64 v96, v[2:3], v[98:99] offset1:3
	ds_write_b64 v96, v[162:163] offset:48
	v_mul_u32_u24_e32 v2, 0x48, v216
	v_lshlrev_b32_sdwa v3, v128, v217 dst_sel:DWORD dst_unused:UNUSED_PAD src0_sel:DWORD src1_sel:BYTE_0
	v_add3_u32 v97, 0, v2, v3
	v_mul_u32_u24_e32 v2, 0x48, v218
	v_lshlrev_b32_sdwa v3, v128, v219 dst_sel:DWORD dst_unused:UNUSED_PAD src0_sel:DWORD src1_sel:BYTE_0
	v_add3_u32 v98, 0, v2, v3
	;; [unrolled: 3-line block ×3, first 2 shown]
	v_perm_b32 v2, v222, v224, s11
	v_pk_mul_lo_u16 v2, v2, s10 op_sel_hi:[1,0]
	ds_write2_b64 v97, v[100:101], v[102:103] offset1:3
	ds_write_b64 v97, v[158:159] offset:48
	v_lshrrev_b32_e32 v3, 16, v2
	v_lshlrev_b32_e32 v100, 3, v223
	v_add3_u32 v100, 0, v3, v100
	v_and_b32_e32 v2, 0xfff8, v2
	v_lshlrev_b32_e32 v3, 3, v142
	v_add3_u32 v101, 0, v2, v3
	v_perm_b32 v2, v226, v225, s11
	v_pk_mul_lo_u16 v2, v2, s10 op_sel_hi:[1,0]
	v_lshlrev_b32_e32 v102, 3, v144
	v_and_b32_e32 v3, 0xfff8, v2
	ds_write2_b64 v98, v[104:105], v[106:107] offset1:3
	ds_write_b64 v98, v[154:155] offset:48
	v_add3_u32 v104, 0, v3, v102
	v_lshrrev_b32_e32 v2, 16, v2
	v_lshlrev_b32_e32 v3, 3, v145
	v_add3_u32 v105, 0, v2, v3
	v_mul_lo_u16_e32 v102, 9, v227
	v_lshlrev_b32_e32 v103, 3, v228
	ds_write2_b64 v99, v[108:109], v[110:111] offset1:3
	ds_write_b64 v99, v[150:151] offset:48
	ds_write2_b64 v100, v[112:113], v[114:115] offset1:3
	ds_write_b64 v100, v[160:161] offset:48
	;; [unrolled: 2-line block ×5, first 2 shown]
	s_and_saveexec_b64 s[10:11], s[0:1]
	s_cbranch_execz .LBB0_25
; %bb.24:
	v_add_f64 v[2:3], v[146:147], v[84:85]
	v_lshlrev_b32_e32 v106, 3, v102
	v_add_f64 v[2:3], v[2:3], v[68:69]
	v_add3_u32 v106, 0, v103, v106
	ds_write2_b64 v106, v[2:3], v[6:7] offset1:3
	ds_write_b64 v106, v[0:1] offset:48
.LBB0_25:
	s_or_b64 exec, exec, s[10:11]
	v_add_f64 v[2:3], v[60:61], v[92:93]
	v_add_f64 v[106:107], v[2:3], v[94:95]
	v_add_f64 v[2:3], v[92:93], v[94:95]
	v_fmac_f64_e32 v[60:61], -0.5, v[2:3]
	v_add_f64 v[2:3], v[74:75], -v[78:79]
	v_fma_f64 v[92:93], s[6:7], v[2:3], v[60:61]
	v_fmac_f64_e32 v[60:61], s[2:3], v[2:3]
	v_add_f64 v[2:3], v[58:59], v[88:89]
	v_add_f64 v[94:95], v[2:3], v[90:91]
	v_add_f64 v[2:3], v[88:89], v[90:91]
	v_fmac_f64_e32 v[58:59], -0.5, v[2:3]
	v_add_f64 v[2:3], v[70:71], -v[50:51]
	v_fma_f64 v[88:89], s[6:7], v[2:3], v[58:59]
	v_fmac_f64_e32 v[58:59], s[2:3], v[2:3]
	;; [unrolled: 7-line block ×8, first 2 shown]
	v_add_f64 v[2:3], v[22:23], v[76:77]
	v_fma_f64 v[8:9], -0.5, v[2:3], v[52:53]
	v_add_f64 v[2:3], v[84:85], -v[68:69]
	v_add_u32_e32 v142, 0x1000, v172
	v_add_u32_e32 v144, 0x1800, v172
	;; [unrolled: 1-line block ×9, first 2 shown]
	v_fma_f64 v[14:15], s[6:7], v[2:3], v[8:9]
	v_fmac_f64_e32 v[8:9], s[2:3], v[2:3]
	s_waitcnt lgkmcnt(0)
	; wave barrier
	s_waitcnt lgkmcnt(0)
	ds_read_b64 v[20:21], v172
	ds_read2_b64 v[48:51], v142 offset0:118 offset1:181
	ds_read2_b64 v[2:5], v144 offset0:114 offset1:177
	;; [unrolled: 1-line block ×5, first 2 shown]
	ds_read_b64 v[70:71], v174
	ds_read2_b64 v[32:35], v146 offset0:116 offset1:179
	ds_read2_b64 v[28:31], v147 offset0:106 offset1:169
	ds_read_b64 v[68:69], v175
	ds_read2_b64 v[24:27], v153 offset0:120 offset1:183
	ds_read2_b64 v[10:13], v152 offset0:110 offset1:173
	ds_read_b64 v[82:83], v177
	ds_read_b64 v[18:19], v176
	;; [unrolled: 1-line block ×3, first 2 shown]
	ds_read_b64 v[16:17], v172 offset:12096
	s_waitcnt lgkmcnt(0)
	; wave barrier
	s_waitcnt lgkmcnt(0)
	ds_write2_b64 v96, v[106:107], v[92:93] offset1:3
	ds_write_b64 v96, v[60:61] offset:48
	ds_write2_b64 v97, v[94:95], v[88:89] offset1:3
	ds_write_b64 v97, v[58:59] offset:48
	;; [unrolled: 2-line block ×8, first 2 shown]
	s_and_saveexec_b64 s[2:3], s[0:1]
	s_cbranch_execz .LBB0_27
; %bb.26:
	v_add_f64 v[22:23], v[52:53], v[22:23]
	v_lshlrev_b32_e32 v52, 3, v102
	v_add_f64 v[22:23], v[22:23], v[76:77]
	v_add3_u32 v52, 0, v103, v52
	ds_write2_b64 v52, v[22:23], v[14:15] offset1:3
	ds_write_b64 v52, v[8:9] offset:48
.LBB0_27:
	s_or_b64 exec, exec, s[2:3]
	v_mov_b32_e32 v22, 57
	v_mul_lo_u16_sdwa v23, v166, v22 dst_sel:DWORD dst_unused:UNUSED_PAD src0_sel:BYTE_0 src1_sel:DWORD
	v_lshrrev_b16_e32 v164, 9, v23
	v_mul_lo_u16_e32 v23, 9, v164
	v_sub_u16_e32 v165, v166, v23
	v_mov_b32_e32 v23, 6
	v_lshlrev_b32_sdwa v72, v23, v165 dst_sel:DWORD dst_unused:UNUSED_PAD src0_sel:DWORD src1_sel:BYTE_0
	s_waitcnt lgkmcnt(0)
	; wave barrier
	s_waitcnt lgkmcnt(0)
	global_load_dwordx4 v[52:55], v72, s[4:5] offset:112
	global_load_dwordx4 v[64:67], v72, s[4:5] offset:96
	;; [unrolled: 1-line block ×4, first 2 shown]
	v_mul_lo_u16_sdwa v72, v170, v22 dst_sel:DWORD dst_unused:UNUSED_PAD src0_sel:BYTE_0 src1_sel:DWORD
	v_lshrrev_b16_e32 v178, 9, v72
	v_mul_lo_u16_e32 v72, 9, v178
	v_sub_u16_e32 v179, v170, v72
	v_lshlrev_b32_sdwa v72, v23, v179 dst_sel:DWORD dst_unused:UNUSED_PAD src0_sel:DWORD src1_sel:BYTE_0
	global_load_dwordx4 v[84:87], v72, s[4:5] offset:96
	global_load_dwordx4 v[88:91], v72, s[4:5] offset:112
	;; [unrolled: 1-line block ×4, first 2 shown]
	v_mul_lo_u16_sdwa v72, v168, v22 dst_sel:DWORD dst_unused:UNUSED_PAD src0_sel:BYTE_0 src1_sel:DWORD
	v_mul_lo_u16_sdwa v22, v169, v22 dst_sel:DWORD dst_unused:UNUSED_PAD src0_sel:BYTE_0 src1_sel:DWORD
	v_lshrrev_b16_e32 v238, 9, v72
	v_lshrrev_b16_e32 v240, 9, v22
	v_mul_lo_u16_e32 v72, 9, v238
	v_mul_lo_u16_e32 v22, 9, v240
	v_sub_u16_e32 v239, v168, v72
	v_sub_u16_e32 v241, v169, v22
	v_lshlrev_b32_sdwa v72, v23, v239 dst_sel:DWORD dst_unused:UNUSED_PAD src0_sel:DWORD src1_sel:BYTE_0
	v_lshlrev_b32_sdwa v22, v23, v241 dst_sel:DWORD dst_unused:UNUSED_PAD src0_sel:DWORD src1_sel:BYTE_0
	s_mov_b32 s0, 0xe38f
	global_load_dwordx4 v[100:103], v72, s[4:5] offset:96
	global_load_dwordx4 v[104:107], v72, s[4:5] offset:112
	;; [unrolled: 1-line block ×6, first 2 shown]
	ds_read_b64 v[72:73], v172
	ds_read2_b64 v[112:115], v142 offset0:118 offset1:181
	ds_read2_b64 v[192:195], v144 offset0:114 offset1:177
	global_load_dwordx4 v[196:199], v22, s[4:5] offset:144
	global_load_dwordx4 v[200:203], v22, s[4:5] offset:128
	v_mul_u32_u24_sdwa v22, v143, s0 dst_sel:DWORD dst_unused:UNUSED_PAD src0_sel:WORD_0 src1_sel:DWORD
	v_lshrrev_b32_e32 v242, 19, v22
	v_mul_lo_u16_e32 v22, 9, v242
	v_sub_u16_e32 v243, v143, v22
	v_lshlrev_b32_e32 v22, 6, v243
	global_load_dwordx4 v[204:207], v22, s[4:5] offset:112
	global_load_dwordx4 v[208:211], v22, s[4:5] offset:96
	ds_read2_b64 v[116:119], v78 offset0:108 offset1:171
	ds_read2_b64 v[122:125], v145 offset0:122 offset1:185
	;; [unrolled: 1-line block ×3, first 2 shown]
	ds_read_b64 v[76:77], v174
	ds_read2_b64 v[212:215], v146 offset0:116 offset1:179
	ds_read2_b64 v[216:219], v147 offset0:106 offset1:169
	global_load_dwordx4 v[220:223], v22, s[4:5] offset:144
	global_load_dwordx4 v[224:227], v22, s[4:5] offset:128
	ds_read_b64 v[78:79], v175
	ds_read2_b64 v[228:231], v153 offset0:120 offset1:183
	ds_read_b64 v[120:121], v177
	ds_read2_b64 v[232:235], v152 offset0:110 offset1:173
	ds_read_b64 v[22:23], v176
	ds_read_b64 v[80:81], v173
	ds_read_b64 v[236:237], v172 offset:12096
	s_mov_b32 s6, 0x134454ff
	s_mov_b32 s7, 0xbfee6f0e
	;; [unrolled: 1-line block ×10, first 2 shown]
	s_waitcnt lgkmcnt(0)
	; wave barrier
	s_waitcnt lgkmcnt(0)
	v_cmp_gt_u32_e64 s[0:1], 36, v166
	s_waitcnt vmcnt(19)
	v_mul_f64 v[158:159], v[112:113], v[54:55]
	s_waitcnt vmcnt(18)
	v_mul_f64 v[156:157], v[120:121], v[66:67]
	v_mul_f64 v[66:67], v[82:83], v[66:67]
	s_waitcnt vmcnt(16)
	v_mul_f64 v[160:161], v[194:195], v[62:63]
	v_mul_f64 v[62:63], v[4:5], v[62:63]
	v_fmac_f64_e32 v[160:161], v[4:5], v[60:61]
	v_mul_f64 v[162:163], v[116:117], v[58:59]
	s_waitcnt vmcnt(14)
	v_mul_f64 v[4:5], v[50:51], v[90:91]
	v_mul_f64 v[58:59], v[44:45], v[58:59]
	;; [unrolled: 1-line block ×4, first 2 shown]
	v_fma_f64 v[138:139], v[120:121], v[64:65], -v[66:67]
	v_fma_f64 v[120:121], v[114:115], v[88:89], -v[4:5]
	s_waitcnt vmcnt(13)
	v_mul_f64 v[4:5], v[36:37], v[94:95]
	v_fma_f64 v[154:155], v[116:117], v[56:57], -v[58:59]
	v_fma_f64 v[116:117], v[122:123], v[84:85], -v[86:87]
	;; [unrolled: 1-line block ×3, first 2 shown]
	s_waitcnt vmcnt(12)
	v_mul_f64 v[4:5], v[46:47], v[98:99]
	v_mul_f64 v[132:133], v[134:135], v[94:95]
	;; [unrolled: 1-line block ×3, first 2 shown]
	v_fma_f64 v[130:131], v[118:119], v[96:97], -v[4:5]
	s_waitcnt vmcnt(11)
	v_mul_f64 v[4:5], v[42:43], v[102:103]
	v_mul_f64 v[54:55], v[48:49], v[54:55]
	v_fmac_f64_e32 v[134:135], v[46:47], v[96:97]
	v_fma_f64 v[96:97], v[124:125], v[100:101], -v[4:5]
	s_waitcnt vmcnt(10)
	v_mul_f64 v[4:5], v[32:33], v[106:107]
	v_mul_f64 v[128:129], v[114:115], v[90:91]
	v_fma_f64 v[148:149], v[112:113], v[52:53], -v[54:55]
	v_mul_f64 v[112:113], v[124:125], v[102:103]
	v_mul_f64 v[114:115], v[212:213], v[106:107]
	v_fma_f64 v[102:103], v[212:213], v[104:105], -v[4:5]
	s_waitcnt vmcnt(9)
	v_mul_f64 v[4:5], v[38:39], v[110:111]
	v_fmac_f64_e32 v[114:115], v[32:33], v[104:105]
	v_fma_f64 v[104:105], v[136:137], v[108:109], -v[4:5]
	s_waitcnt vmcnt(8)
	v_mul_f64 v[4:5], v[28:29], v[182:183]
	v_mul_f64 v[118:119], v[136:137], v[110:111]
	v_mul_f64 v[124:125], v[216:217], v[182:183]
	v_fma_f64 v[110:111], v[216:217], v[180:181], -v[4:5]
	s_waitcnt vmcnt(7)
	v_mul_f64 v[4:5], v[24:25], v[186:187]
	v_fmac_f64_e32 v[124:125], v[28:29], v[180:181]
	v_fma_f64 v[28:29], v[228:229], v[184:185], -v[4:5]
	s_waitcnt vmcnt(6)
	v_mul_f64 v[4:5], v[34:35], v[190:191]
	v_fmac_f64_e32 v[156:157], v[82:83], v[64:65]
	v_fma_f64 v[64:65], v[214:215], v[188:189], -v[4:5]
	s_waitcnt vmcnt(4)
	v_mul_f64 v[4:5], v[10:11], v[202:203]
	v_fma_f64 v[66:67], v[232:233], v[200:201], -v[4:5]
	v_mul_f64 v[4:5], v[30:31], v[198:199]
	v_fmac_f64_e32 v[158:159], v[48:49], v[52:53]
	v_fmac_f64_e32 v[126:127], v[40:41], v[84:85]
	;; [unrolled: 1-line block ×4, first 2 shown]
	v_mul_f64 v[100:101], v[232:233], v[202:203]
	v_fma_f64 v[84:85], v[218:219], v[196:197], -v[4:5]
	s_waitcnt vmcnt(2)
	v_mul_f64 v[4:5], v[26:27], v[210:211]
	v_mul_f64 v[92:93], v[192:193], v[206:207]
	v_fmac_f64_e32 v[100:101], v[10:11], v[200:201]
	v_mul_f64 v[106:107], v[218:219], v[198:199]
	v_fma_f64 v[10:11], v[230:231], v[208:209], -v[4:5]
	v_fmac_f64_e32 v[92:93], v[2:3], v[204:205]
	v_mul_f64 v[2:3], v[2:3], v[206:207]
	s_waitcnt vmcnt(0)
	v_mul_f64 v[98:99], v[234:235], v[226:227]
	v_add_f64 v[4:5], v[158:159], v[160:161]
	v_fma_f64 v[150:151], v[194:195], v[60:61], -v[62:63]
	v_fmac_f64_e32 v[162:163], v[44:45], v[56:57]
	v_fmac_f64_e32 v[128:129], v[50:51], v[88:89]
	;; [unrolled: 1-line block ×3, first 2 shown]
	v_mul_f64 v[90:91], v[228:229], v[186:187]
	v_fmac_f64_e32 v[106:107], v[30:31], v[196:197]
	v_mul_f64 v[88:89], v[230:231], v[210:211]
	v_fma_f64 v[30:31], v[192:193], v[204:205], -v[2:3]
	v_fmac_f64_e32 v[98:99], v[12:13], v[224:225]
	v_mul_f64 v[2:3], v[12:13], v[226:227]
	v_mul_f64 v[108:109], v[236:237], v[222:223]
	v_fma_f64 v[12:13], -0.5, v[4:5], v[20:21]
	v_add_f64 v[4:5], v[138:139], -v[154:155]
	v_fmac_f64_e32 v[90:91], v[24:25], v[184:185]
	v_fmac_f64_e32 v[88:89], v[26:27], v[208:209]
	v_fma_f64 v[82:83], v[234:235], v[224:225], -v[2:3]
	v_fmac_f64_e32 v[108:109], v[16:17], v[220:221]
	v_mul_f64 v[2:3], v[16:17], v[222:223]
	v_fma_f64 v[24:25], s[6:7], v[4:5], v[12:13]
	v_add_f64 v[16:17], v[148:149], -v[150:151]
	v_add_f64 v[26:27], v[156:157], -v[158:159]
	;; [unrolled: 1-line block ×3, first 2 shown]
	v_fmac_f64_e32 v[12:13], s[12:13], v[4:5]
	v_fmac_f64_e32 v[24:25], s[2:3], v[16:17]
	v_add_f64 v[26:27], v[26:27], v[32:33]
	v_fmac_f64_e32 v[12:13], s[14:15], v[16:17]
	v_fmac_f64_e32 v[24:25], s[10:11], v[26:27]
	;; [unrolled: 1-line block ×3, first 2 shown]
	v_add_f64 v[26:27], v[156:157], v[162:163]
	v_fma_f64 v[86:87], v[236:237], v[220:221], -v[2:3]
	v_add_f64 v[2:3], v[20:21], v[156:157]
	v_fmac_f64_e32 v[20:21], -0.5, v[26:27]
	v_fma_f64 v[26:27], s[12:13], v[16:17], v[20:21]
	v_fmac_f64_e32 v[20:21], s[6:7], v[16:17]
	v_mul_f64 v[94:95], v[214:215], v[190:191]
	v_fmac_f64_e32 v[26:27], s[2:3], v[4:5]
	v_fmac_f64_e32 v[20:21], s[14:15], v[4:5]
	v_add_f64 v[4:5], v[74:75], v[126:127]
	v_fmac_f64_e32 v[94:95], v[34:35], v[188:189]
	v_add_f64 v[32:33], v[158:159], -v[156:157]
	v_add_f64 v[34:35], v[160:161], -v[162:163]
	v_add_f64 v[4:5], v[4:5], v[128:129]
	v_add_f64 v[32:33], v[32:33], v[34:35]
	v_add_f64 v[4:5], v[4:5], v[132:133]
	v_fmac_f64_e32 v[26:27], s[10:11], v[32:33]
	v_fmac_f64_e32 v[20:21], s[10:11], v[32:33]
	v_add_f64 v[32:33], v[4:5], v[134:135]
	v_add_f64 v[4:5], v[128:129], v[132:133]
	v_fma_f64 v[34:35], -0.5, v[4:5], v[74:75]
	v_add_f64 v[4:5], v[116:117], -v[130:131]
	v_fma_f64 v[36:37], s[6:7], v[4:5], v[34:35]
	v_add_f64 v[16:17], v[120:121], -v[122:123]
	v_add_f64 v[38:39], v[126:127], -v[128:129]
	v_add_f64 v[40:41], v[134:135], -v[132:133]
	v_fmac_f64_e32 v[34:35], s[12:13], v[4:5]
	v_fmac_f64_e32 v[36:37], s[2:3], v[16:17]
	v_add_f64 v[38:39], v[38:39], v[40:41]
	v_fmac_f64_e32 v[34:35], s[14:15], v[16:17]
	v_fmac_f64_e32 v[36:37], s[10:11], v[38:39]
	v_fmac_f64_e32 v[34:35], s[10:11], v[38:39]
	v_add_f64 v[38:39], v[126:127], v[134:135]
	v_fmac_f64_e32 v[74:75], -0.5, v[38:39]
	v_fma_f64 v[38:39], s[12:13], v[16:17], v[74:75]
	v_fmac_f64_e32 v[74:75], s[6:7], v[16:17]
	v_fmac_f64_e32 v[38:39], s[2:3], v[4:5]
	v_fmac_f64_e32 v[74:75], s[14:15], v[4:5]
	v_add_f64 v[4:5], v[70:71], v[112:113]
	v_add_f64 v[40:41], v[128:129], -v[126:127]
	v_add_f64 v[42:43], v[132:133], -v[134:135]
	v_add_f64 v[4:5], v[4:5], v[114:115]
	v_add_f64 v[40:41], v[40:41], v[42:43]
	v_add_f64 v[4:5], v[4:5], v[118:119]
	v_fmac_f64_e32 v[38:39], s[10:11], v[40:41]
	v_fmac_f64_e32 v[74:75], s[10:11], v[40:41]
	v_add_f64 v[40:41], v[4:5], v[124:125]
	v_add_f64 v[4:5], v[114:115], v[118:119]
	v_fma_f64 v[42:43], -0.5, v[4:5], v[70:71]
	v_add_f64 v[4:5], v[96:97], -v[110:111]
	v_fma_f64 v[44:45], s[6:7], v[4:5], v[42:43]
	v_add_f64 v[16:17], v[102:103], -v[104:105]
	v_add_f64 v[46:47], v[112:113], -v[114:115]
	v_add_f64 v[48:49], v[124:125], -v[118:119]
	v_fmac_f64_e32 v[42:43], s[12:13], v[4:5]
	v_fmac_f64_e32 v[44:45], s[2:3], v[16:17]
	v_add_f64 v[46:47], v[46:47], v[48:49]
	v_fmac_f64_e32 v[42:43], s[14:15], v[16:17]
	v_fmac_f64_e32 v[44:45], s[10:11], v[46:47]
	v_fmac_f64_e32 v[42:43], s[10:11], v[46:47]
	v_add_f64 v[46:47], v[112:113], v[124:125]
	v_fmac_f64_e32 v[70:71], -0.5, v[46:47]
	v_fma_f64 v[46:47], s[12:13], v[16:17], v[70:71]
	v_fmac_f64_e32 v[70:71], s[6:7], v[16:17]
	v_fmac_f64_e32 v[46:47], s[2:3], v[4:5]
	v_fmac_f64_e32 v[70:71], s[14:15], v[4:5]
	v_add_f64 v[4:5], v[68:69], v[90:91]
	;; [unrolled: 28-line block ×3, first 2 shown]
	v_add_f64 v[56:57], v[94:95], -v[90:91]
	v_add_f64 v[58:59], v[100:101], -v[106:107]
	v_add_f64 v[4:5], v[4:5], v[92:93]
	v_add_f64 v[56:57], v[56:57], v[58:59]
	;; [unrolled: 1-line block ×3, first 2 shown]
	v_fmac_f64_e32 v[54:55], s[10:11], v[56:57]
	v_fmac_f64_e32 v[68:69], s[10:11], v[56:57]
	v_add_f64 v[56:57], v[4:5], v[108:109]
	v_add_f64 v[4:5], v[92:93], v[98:99]
	v_fma_f64 v[4:5], -0.5, v[4:5], v[18:19]
	v_add_f64 v[58:59], v[10:11], -v[86:87]
	v_fma_f64 v[136:137], s[6:7], v[58:59], v[4:5]
	v_add_f64 v[60:61], v[30:31], -v[82:83]
	v_add_f64 v[16:17], v[88:89], -v[92:93]
	;; [unrolled: 1-line block ×3, first 2 shown]
	v_fmac_f64_e32 v[4:5], s[12:13], v[58:59]
	v_fmac_f64_e32 v[136:137], s[2:3], v[60:61]
	v_add_f64 v[16:17], v[16:17], v[62:63]
	v_fmac_f64_e32 v[4:5], s[14:15], v[60:61]
	v_fmac_f64_e32 v[136:137], s[10:11], v[16:17]
	;; [unrolled: 1-line block ×3, first 2 shown]
	v_add_f64 v[16:17], v[88:89], v[108:109]
	v_fmac_f64_e32 v[18:19], -0.5, v[16:17]
	v_fma_f64 v[16:17], s[12:13], v[60:61], v[18:19]
	v_fmac_f64_e32 v[18:19], s[6:7], v[60:61]
	v_add_f64 v[2:3], v[2:3], v[158:159]
	v_fmac_f64_e32 v[16:17], s[2:3], v[58:59]
	v_fmac_f64_e32 v[18:19], s[14:15], v[58:59]
	v_mov_b32_e32 v59, 3
	v_add_f64 v[2:3], v[2:3], v[160:161]
	v_mul_u32_u24_e32 v58, 0x168, v164
	v_lshlrev_b32_sdwa v60, v59, v165 dst_sel:DWORD dst_unused:UNUSED_PAD src0_sel:DWORD src1_sel:BYTE_0
	v_add_f64 v[2:3], v[2:3], v[162:163]
	v_add3_u32 v164, 0, v58, v60
	ds_write2_b64 v164, v[2:3], v[24:25] offset1:9
	ds_write2_b64 v164, v[26:27], v[20:21] offset0:18 offset1:27
	ds_write_b64 v164, v[12:13] offset:288
	v_mul_u32_u24_e32 v2, 0x168, v178
	v_lshlrev_b32_sdwa v3, v59, v179 dst_sel:DWORD dst_unused:UNUSED_PAD src0_sel:DWORD src1_sel:BYTE_0
	v_add3_u32 v165, 0, v2, v3
	v_mul_u32_u24_e32 v2, 0x168, v238
	v_lshlrev_b32_sdwa v3, v59, v239 dst_sel:DWORD dst_unused:UNUSED_PAD src0_sel:DWORD src1_sel:BYTE_0
	ds_write2_b64 v165, v[32:33], v[36:37] offset1:9
	ds_write2_b64 v165, v[38:39], v[74:75] offset0:18 offset1:27
	ds_write_b64 v165, v[34:35] offset:288
	v_add3_u32 v74, 0, v2, v3
	v_mul_u32_u24_e32 v2, 0x168, v240
	v_lshlrev_b32_sdwa v3, v59, v241 dst_sel:DWORD dst_unused:UNUSED_PAD src0_sel:DWORD src1_sel:BYTE_0
	v_add_f64 v[62:63], v[92:93], -v[88:89]
	v_add_f64 v[180:181], v[98:99], -v[108:109]
	ds_write2_b64 v74, v[40:41], v[44:45] offset1:9
	ds_write2_b64 v74, v[46:47], v[70:71] offset0:18 offset1:27
	ds_write_b64 v74, v[42:43] offset:288
	v_add3_u32 v70, 0, v2, v3
	v_mul_u32_u24_e32 v2, 0x168, v242
	v_lshlrev_b32_e32 v3, 3, v243
	v_add_f64 v[62:63], v[62:63], v[180:181]
	ds_write2_b64 v70, v[48:49], v[52:53] offset1:9
	ds_write2_b64 v70, v[54:55], v[68:69] offset0:18 offset1:27
	ds_write_b64 v70, v[50:51] offset:288
	v_add3_u32 v68, 0, v2, v3
	v_fmac_f64_e32 v[16:17], s[10:11], v[62:63]
	v_fmac_f64_e32 v[18:19], s[10:11], v[62:63]
	ds_write2_b64 v68, v[56:57], v[136:137] offset1:9
	ds_write2_b64 v68, v[16:17], v[18:19] offset0:18 offset1:27
	ds_write_b64 v68, v[4:5] offset:288
	s_waitcnt lgkmcnt(0)
	; wave barrier
	s_waitcnt lgkmcnt(0)
	ds_read2_b64 v[24:27], v172 offset1:225
	ds_read2_b64 v[60:63], v153 offset0:66 offset1:129
	ds_read2_b64 v[40:43], v142 offset0:64 offset1:163
	;; [unrolled: 1-line block ×8, first 2 shown]
	ds_read_b64 v[144:145], v174
	ds_read_b64 v[146:147], v173
	ds_read_b64 v[152:153], v172 offset:11808
	s_and_saveexec_b64 s[16:17], s[0:1]
	s_cbranch_execz .LBB0_29
; %bb.28:
	v_add_u32_e32 v0, 0xc00, v172
	ds_read2_b64 v[16:19], v0 offset0:30 offset1:255
	v_add_u32_e32 v0, 0x1b00, v172
	ds_read2_b64 v[4:7], v0 offset1:225
	v_add_u32_e32 v0, 0x2900, v172
	ds_read_b64 v[136:137], v175
	ds_read2_b64 v[0:3], v0 offset0:2 offset1:227
.LBB0_29:
	s_or_b64 exec, exec, s[16:17]
	v_add_f64 v[12:13], v[72:73], v[138:139]
	v_add_f64 v[12:13], v[12:13], v[148:149]
	;; [unrolled: 1-line block ×5, first 2 shown]
	v_fma_f64 v[180:181], -0.5, v[12:13], v[72:73]
	v_add_f64 v[12:13], v[156:157], -v[162:163]
	v_fma_f64 v[156:157], s[12:13], v[12:13], v[180:181]
	v_add_f64 v[20:21], v[158:159], -v[160:161]
	v_add_f64 v[158:159], v[138:139], -v[148:149]
	;; [unrolled: 1-line block ×3, first 2 shown]
	v_fmac_f64_e32 v[180:181], s[6:7], v[12:13]
	v_fmac_f64_e32 v[156:157], s[14:15], v[20:21]
	v_add_f64 v[158:159], v[158:159], v[160:161]
	v_fmac_f64_e32 v[180:181], s[2:3], v[20:21]
	v_fmac_f64_e32 v[156:157], s[10:11], v[158:159]
	;; [unrolled: 1-line block ×3, first 2 shown]
	v_add_f64 v[158:159], v[138:139], v[154:155]
	v_fmac_f64_e32 v[72:73], -0.5, v[158:159]
	v_fma_f64 v[158:159], s[6:7], v[20:21], v[72:73]
	v_fmac_f64_e32 v[72:73], s[12:13], v[20:21]
	v_fmac_f64_e32 v[158:159], s[14:15], v[12:13]
	;; [unrolled: 1-line block ×3, first 2 shown]
	v_add_f64 v[12:13], v[80:81], v[116:117]
	v_add_f64 v[12:13], v[12:13], v[120:121]
	v_add_f64 v[138:139], v[148:149], -v[138:139]
	v_add_f64 v[148:149], v[150:151], -v[154:155]
	v_add_f64 v[12:13], v[12:13], v[122:123]
	v_add_f64 v[138:139], v[138:139], v[148:149]
	;; [unrolled: 1-line block ×4, first 2 shown]
	v_fma_f64 v[150:151], -0.5, v[12:13], v[80:81]
	v_add_f64 v[12:13], v[126:127], -v[134:135]
	v_fma_f64 v[126:127], s[12:13], v[12:13], v[150:151]
	v_add_f64 v[20:21], v[128:129], -v[132:133]
	v_add_f64 v[128:129], v[116:117], -v[120:121]
	v_add_f64 v[132:133], v[130:131], -v[122:123]
	v_fmac_f64_e32 v[150:151], s[6:7], v[12:13]
	v_fmac_f64_e32 v[126:127], s[14:15], v[20:21]
	v_add_f64 v[128:129], v[128:129], v[132:133]
	v_fmac_f64_e32 v[150:151], s[2:3], v[20:21]
	v_fmac_f64_e32 v[126:127], s[10:11], v[128:129]
	v_fmac_f64_e32 v[150:151], s[10:11], v[128:129]
	v_add_f64 v[128:129], v[116:117], v[130:131]
	v_fmac_f64_e32 v[80:81], -0.5, v[128:129]
	v_fma_f64 v[128:129], s[6:7], v[20:21], v[80:81]
	v_fmac_f64_e32 v[80:81], s[12:13], v[20:21]
	v_fmac_f64_e32 v[128:129], s[14:15], v[12:13]
	v_fmac_f64_e32 v[80:81], s[2:3], v[12:13]
	v_add_f64 v[12:13], v[76:77], v[96:97]
	v_add_f64 v[116:117], v[120:121], -v[116:117]
	v_add_f64 v[120:121], v[122:123], -v[130:131]
	v_add_f64 v[12:13], v[12:13], v[102:103]
	v_add_f64 v[116:117], v[116:117], v[120:121]
	v_add_f64 v[12:13], v[12:13], v[104:105]
	v_fmac_f64_e32 v[128:129], s[10:11], v[116:117]
	v_fmac_f64_e32 v[80:81], s[10:11], v[116:117]
	v_add_f64 v[116:117], v[12:13], v[110:111]
	v_add_f64 v[12:13], v[102:103], v[104:105]
	v_fma_f64 v[120:121], -0.5, v[12:13], v[76:77]
	v_add_f64 v[12:13], v[112:113], -v[124:125]
	v_fma_f64 v[112:113], s[12:13], v[12:13], v[120:121]
	v_add_f64 v[20:21], v[114:115], -v[118:119]
	v_add_f64 v[114:115], v[96:97], -v[102:103]
	v_add_f64 v[118:119], v[110:111], -v[104:105]
	v_fmac_f64_e32 v[120:121], s[6:7], v[12:13]
	v_fmac_f64_e32 v[112:113], s[14:15], v[20:21]
	v_add_f64 v[114:115], v[114:115], v[118:119]
	v_fmac_f64_e32 v[120:121], s[2:3], v[20:21]
	v_fmac_f64_e32 v[112:113], s[10:11], v[114:115]
	v_fmac_f64_e32 v[120:121], s[10:11], v[114:115]
	v_add_f64 v[114:115], v[96:97], v[110:111]
	v_fmac_f64_e32 v[76:77], -0.5, v[114:115]
	v_fma_f64 v[114:115], s[6:7], v[20:21], v[76:77]
	v_fmac_f64_e32 v[76:77], s[12:13], v[20:21]
	v_fmac_f64_e32 v[114:115], s[14:15], v[12:13]
	v_fmac_f64_e32 v[76:77], s[2:3], v[12:13]
	v_add_f64 v[12:13], v[78:79], v[28:29]
	v_add_f64 v[96:97], v[102:103], -v[96:97]
	v_add_f64 v[102:103], v[104:105], -v[110:111]
	v_add_f64 v[12:13], v[12:13], v[64:65]
	v_add_f64 v[96:97], v[96:97], v[102:103]
	v_add_f64 v[12:13], v[12:13], v[66:67]
	v_fmac_f64_e32 v[114:115], s[10:11], v[96:97]
	v_fmac_f64_e32 v[76:77], s[10:11], v[96:97]
	v_add_f64 v[96:97], v[12:13], v[84:85]
	v_add_f64 v[12:13], v[64:65], v[66:67]
	;; [unrolled: 28-line block ×3, first 2 shown]
	v_fma_f64 v[12:13], -0.5, v[12:13], v[22:23]
	v_add_f64 v[64:65], v[88:89], -v[108:109]
	v_fmac_f64_e32 v[158:159], s[10:11], v[138:139]
	v_fmac_f64_e32 v[72:73], s[10:11], v[138:139]
	v_fma_f64 v[138:139], s[12:13], v[64:65], v[12:13]
	v_add_f64 v[66:67], v[92:93], -v[98:99]
	v_add_f64 v[20:21], v[10:11], -v[30:31]
	;; [unrolled: 1-line block ×3, first 2 shown]
	v_fmac_f64_e32 v[12:13], s[6:7], v[64:65]
	v_fmac_f64_e32 v[138:139], s[14:15], v[66:67]
	v_add_f64 v[20:21], v[20:21], v[84:85]
	v_fmac_f64_e32 v[12:13], s[2:3], v[66:67]
	v_fmac_f64_e32 v[138:139], s[10:11], v[20:21]
	;; [unrolled: 1-line block ×3, first 2 shown]
	v_add_f64 v[20:21], v[10:11], v[86:87]
	v_fmac_f64_e32 v[22:23], -0.5, v[20:21]
	v_fma_f64 v[20:21], s[6:7], v[66:67], v[22:23]
	v_add_f64 v[10:11], v[30:31], -v[10:11]
	v_add_f64 v[30:31], v[82:83], -v[86:87]
	v_fmac_f64_e32 v[22:23], s[12:13], v[66:67]
	v_fmac_f64_e32 v[20:21], s[14:15], v[64:65]
	v_add_f64 v[10:11], v[10:11], v[30:31]
	v_fmac_f64_e32 v[22:23], s[2:3], v[64:65]
	v_fmac_f64_e32 v[20:21], s[10:11], v[10:11]
	;; [unrolled: 1-line block ×3, first 2 shown]
	s_waitcnt lgkmcnt(0)
	; wave barrier
	s_waitcnt lgkmcnt(0)
	ds_write2_b64 v164, v[178:179], v[156:157] offset1:9
	ds_write2_b64 v164, v[158:159], v[72:73] offset0:18 offset1:27
	ds_write_b64 v164, v[180:181] offset:288
	ds_write2_b64 v165, v[148:149], v[126:127] offset1:9
	ds_write2_b64 v165, v[128:129], v[80:81] offset0:18 offset1:27
	ds_write_b64 v165, v[150:151] offset:288
	;; [unrolled: 3-line block ×5, first 2 shown]
	v_add_u32_e32 v11, 0x1000, v172
	v_add_u32_e32 v72, 0x2800, v172
	s_waitcnt lgkmcnt(0)
	; wave barrier
	s_waitcnt lgkmcnt(0)
	ds_read2_b64 v[68:71], v11 offset0:64 offset1:163
	v_add_u32_e32 v11, 0x1800, v172
	ds_read2_b64 v[84:87], v72 offset0:70 offset1:133
	v_add_u32_e32 v72, 0x800, v172
	v_add_u32_e32 v10, 0xc00, v172
	ds_read2_b64 v[88:91], v11 offset0:132 offset1:195
	v_add_u32_e32 v11, 0x2000, v172
	ds_read2_b64 v[80:83], v72 offset0:32 offset1:95
	v_add_u32_e32 v72, 0x1400, v172
	ds_read2_b64 v[28:31], v172 offset1:225
	ds_read2_b64 v[92:95], v10 offset0:66 offset1:129
	ds_read2_b64 v[64:67], v11 offset0:2 offset1:101
	;; [unrolled: 1-line block ×4, first 2 shown]
	ds_read_b64 v[148:149], v174
	ds_read_b64 v[150:151], v173
	ds_read_b64 v[154:155], v172 offset:11808
	s_and_saveexec_b64 s[2:3], s[0:1]
	s_cbranch_execz .LBB0_31
; %bb.30:
	v_add_u32_e32 v8, 0x1b00, v172
	ds_read_b64 v[138:139], v175
	ds_read2_b64 v[20:23], v10 offset0:30 offset1:255
	ds_read2_b64 v[12:15], v8 offset1:225
	v_add_u32_e32 v8, 0x2900, v172
	ds_read2_b64 v[8:11], v8 offset0:2 offset1:227
.LBB0_31:
	s_or_b64 exec, exec, s[2:3]
	v_subrev_u32_e32 v96, 45, v166
	v_cmp_gt_u32_e64 s[2:3], 45, v166
	v_mov_b32_e32 v156, 6
	v_mov_b32_e32 v97, 0
	v_cndmask_b32_e64 v142, v96, v166, s[2:3]
	s_movk_i32 s2, 0x6d
	v_mul_lo_u16_sdwa v120, v170, s2 dst_sel:DWORD dst_unused:UNUSED_PAD src0_sel:BYTE_0 src1_sel:DWORD
	v_sub_u16_sdwa v121, v170, v120 dst_sel:DWORD dst_unused:UNUSED_PAD src0_sel:DWORD src1_sel:BYTE_1
	v_lshrrev_b16_e32 v121, 1, v121
	v_and_b32_e32 v121, 0x7f, v121
	v_add_u16_sdwa v120, v121, v120 dst_sel:DWORD dst_unused:UNUSED_PAD src0_sel:DWORD src1_sel:BYTE_1
	v_lshrrev_b16_e32 v164, 5, v120
	v_mul_lo_u16_e32 v120, 45, v164
	v_sub_u16_e32 v165, v170, v120
	v_mul_lo_u16_sdwa v158, v168, s2 dst_sel:DWORD dst_unused:UNUSED_PAD src0_sel:BYTE_0 src1_sel:DWORD
	v_mul_i32_i24_e32 v96, 6, v142
	v_mul_u32_u24_sdwa v120, v165, v156 dst_sel:DWORD dst_unused:UNUSED_PAD src0_sel:BYTE_0 src1_sel:DWORD
	v_sub_u16_sdwa v159, v168, v158 dst_sel:DWORD dst_unused:UNUSED_PAD src0_sel:DWORD src1_sel:BYTE_1
	v_lshl_add_u64 v[112:113], v[96:97], 4, s[4:5]
	v_lshlrev_b32_e32 v157, 4, v120
	v_lshrrev_b16_e32 v159, 1, v159
	global_load_dwordx4 v[108:111], v[112:113], off offset:672
	global_load_dwordx4 v[104:107], v[112:113], off offset:688
	;; [unrolled: 1-line block ×5, first 2 shown]
	s_nop 0
	global_load_dwordx4 v[112:115], v[112:113], off offset:752
	s_nop 0
	global_load_dwordx4 v[132:135], v157, s[4:5] offset:672
	global_load_dwordx4 v[128:131], v157, s[4:5] offset:688
	;; [unrolled: 1-line block ×6, first 2 shown]
	v_and_b32_e32 v157, 0x7f, v159
	v_add_u16_sdwa v157, v157, v158 dst_sel:DWORD dst_unused:UNUSED_PAD src0_sel:DWORD src1_sel:BYTE_1
	v_lshrrev_b16_e32 v240, 5, v157
	v_mul_lo_u16_e32 v157, 45, v240
	v_sub_u16_e32 v241, v168, v157
	v_mul_lo_u16_sdwa v157, v169, s2 dst_sel:DWORD dst_unused:UNUSED_PAD src0_sel:BYTE_0 src1_sel:DWORD
	v_sub_u16_sdwa v158, v169, v157 dst_sel:DWORD dst_unused:UNUSED_PAD src0_sel:DWORD src1_sel:BYTE_1
	v_mul_u32_u24_sdwa v156, v241, v156 dst_sel:DWORD dst_unused:UNUSED_PAD src0_sel:BYTE_0 src1_sel:DWORD
	v_lshrrev_b16_e32 v158, 1, v158
	v_lshlrev_b32_e32 v156, 4, v156
	v_and_b32_e32 v158, 0x7f, v158
	global_load_dwordx4 v[186:189], v156, s[4:5] offset:672
	global_load_dwordx4 v[190:193], v156, s[4:5] offset:688
	;; [unrolled: 1-line block ×6, first 2 shown]
	v_add_u16_sdwa v156, v158, v157 dst_sel:DWORD dst_unused:UNUSED_PAD src0_sel:DWORD src1_sel:BYTE_1
	v_lshrrev_b16_e32 v156, 5, v156
	v_mul_lo_u16_e32 v156, 45, v156
	v_sub_u16_e32 v156, v169, v156
	v_and_b32_e32 v242, 0xff, v156
	v_mul_u32_u24_e32 v156, 6, v242
	v_lshlrev_b32_e32 v156, 4, v156
	global_load_dwordx4 v[210:213], v156, s[4:5] offset:672
	global_load_dwordx4 v[214:217], v156, s[4:5] offset:688
	;; [unrolled: 1-line block ×6, first 2 shown]
	s_mov_b32 s10, 0x37e14327
	s_mov_b32 s6, 0x36b3c0b5
	;; [unrolled: 1-line block ×20, first 2 shown]
	v_cmp_lt_u32_e64 s[2:3], 44, v166
	s_waitcnt lgkmcnt(0)
	; wave barrier
	s_waitcnt vmcnt(23) lgkmcnt(0)
	v_mul_f64 v[156:157], v[30:31], v[110:111]
	v_mul_f64 v[162:163], v[26:27], v[110:111]
	s_waitcnt vmcnt(22)
	v_mul_f64 v[110:111], v[92:93], v[106:107]
	v_mul_f64 v[234:235], v[60:61], v[106:107]
	v_fmac_f64_e32 v[156:157], v[26:27], v[108:109]
	s_waitcnt vmcnt(17)
	v_mul_f64 v[26:27], v[48:49], v[134:135]
	v_mul_f64 v[158:159], v[88:89], v[98:99]
	;; [unrolled: 1-line block ×3, first 2 shown]
	v_fmac_f64_e32 v[110:111], v[60:61], v[104:105]
	v_fma_f64 v[104:105], v[92:93], v[104:105], -v[234:235]
	v_fma_f64 v[92:93], v[80:81], v[132:133], -v[26:27]
	s_waitcnt vmcnt(16)
	v_mul_f64 v[26:27], v[62:63], v[130:131]
	v_mul_f64 v[160:161], v[66:67], v[118:119]
	;; [unrolled: 1-line block ×5, first 2 shown]
	v_fma_f64 v[108:109], v[30:31], v[108:109], -v[162:163]
	v_fma_f64 v[162:163], v[88:89], v[96:97], -v[98:99]
	v_mul_f64 v[88:89], v[94:95], v[130:131]
	v_fma_f64 v[94:95], v[94:95], v[128:129], -v[26:27]
	s_waitcnt vmcnt(15)
	v_mul_f64 v[26:27], v[44:45], v[126:127]
	v_mul_f64 v[106:107], v[70:71], v[102:103]
	;; [unrolled: 1-line block ×3, first 2 shown]
	v_fmac_f64_e32 v[118:119], v[52:53], v[112:113]
	v_fma_f64 v[112:113], v[84:85], v[112:113], -v[238:239]
	v_mul_f64 v[84:85], v[80:81], v[134:135]
	v_mul_f64 v[80:81], v[76:77], v[126:127]
	v_fma_f64 v[76:77], v[76:77], v[124:125], -v[26:27]
	s_waitcnt vmcnt(14)
	v_mul_f64 v[26:27], v[58:59], v[122:123]
	s_waitcnt vmcnt(12)
	v_mul_f64 v[98:99], v[72:73], v[184:185]
	v_fma_f64 v[114:115], v[70:71], v[100:101], -v[102:103]
	v_fmac_f64_e32 v[158:159], v[56:57], v[96:97]
	v_mul_f64 v[96:97], v[90:91], v[122:123]
	v_fma_f64 v[90:91], v[90:91], v[120:121], -v[26:27]
	v_fmac_f64_e32 v[98:99], v[36:37], v[182:183]
	v_mul_f64 v[26:27], v[36:37], v[184:185]
	v_mul_f64 v[102:103], v[86:87], v[180:181]
	s_waitcnt vmcnt(10)
	v_mul_f64 v[36:37], v[40:41], v[192:193]
	v_fmac_f64_e32 v[106:107], v[42:43], v[100:101]
	v_fma_f64 v[100:101], v[72:73], v[182:183], -v[26:27]
	v_fmac_f64_e32 v[102:103], v[54:55], v[178:179]
	v_mul_f64 v[26:27], v[54:55], v[180:181]
	v_mul_f64 v[30:31], v[50:51], v[188:189]
	v_fma_f64 v[54:55], v[68:69], v[190:191], -v[36:37]
	s_waitcnt vmcnt(9)
	v_mul_f64 v[36:37], v[46:47], v[196:197]
	v_fmac_f64_e32 v[160:161], v[34:35], v[116:117]
	v_fma_f64 v[116:117], v[66:67], v[116:117], -v[236:237]
	v_fma_f64 v[34:35], v[82:83], v[186:187], -v[30:31]
	v_mul_f64 v[30:31], v[68:69], v[192:193]
	v_fma_f64 v[66:67], v[78:79], v[194:195], -v[36:37]
	s_waitcnt vmcnt(8)
	v_mul_f64 v[68:69], v[64:65], v[200:201]
	s_waitcnt vmcnt(6)
	v_mul_f64 v[36:37], v[38:39], v[208:209]
	;; [unrolled: 2-line block ×4, first 2 shown]
	v_mul_f64 v[52:53], v[78:79], v[196:197]
	v_fmac_f64_e32 v[68:69], v[32:33], v[198:199]
	v_mul_f64 v[32:33], v[32:33], v[200:201]
	v_fma_f64 v[70:71], v[74:75], v[206:207], -v[36:37]
	v_mul_f64 v[36:37], v[152:153], v[204:205]
	v_fmac_f64_e32 v[42:43], v[4:5], v[222:223]
	v_mul_f64 v[4:5], v[4:5], v[224:225]
	v_fmac_f64_e32 v[56:57], v[0:1], v[230:231]
	;; [unrolled: 2-line block ×3, first 2 shown]
	v_fma_f64 v[86:87], v[86:87], v[178:179], -v[26:27]
	v_mul_f64 v[26:27], v[82:83], v[188:189]
	v_fmac_f64_e32 v[52:53], v[46:47], v[194:195]
	v_fma_f64 v[32:33], v[64:65], v[198:199], -v[32:33]
	v_mul_f64 v[64:65], v[74:75], v[208:209]
	v_fma_f64 v[74:75], v[154:155], v[202:203], -v[36:37]
	v_mul_f64 v[36:37], v[20:21], v[212:213]
	;; [unrolled: 2-line block ×4, first 2 shown]
	v_fmac_f64_e32 v[84:85], v[48:49], v[132:133]
	v_fmac_f64_e32 v[88:89], v[62:63], v[128:129]
	v_fmac_f64_e32 v[26:27], v[50:51], v[186:187]
	v_fmac_f64_e32 v[36:37], v[16:17], v[210:211]
	v_mul_f64 v[16:17], v[16:17], v[212:213]
	v_mul_f64 v[48:49], v[14:15], v[220:221]
	v_fma_f64 v[50:51], v[14:15], v[218:219], -v[4:5]
	v_mul_f64 v[60:61], v[10:11], v[228:229]
	v_fma_f64 v[62:63], v[10:11], v[226:227], -v[0:1]
	v_add_f64 v[0:1], v[156:157], v[118:119]
	v_add_f64 v[4:5], v[110:111], v[160:161]
	v_fmac_f64_e32 v[30:31], v[40:41], v[190:191]
	v_fmac_f64_e32 v[64:65], v[38:39], v[206:207]
	v_fma_f64 v[40:41], v[20:21], v[210:211], -v[16:17]
	v_mul_f64 v[38:39], v[22:23], v[216:217]
	v_mul_f64 v[16:17], v[18:19], v[216:217]
	v_fmac_f64_e32 v[48:49], v[6:7], v[218:219]
	v_fmac_f64_e32 v[60:61], v[2:3], v[226:227]
	v_add_f64 v[2:3], v[108:109], -v[112:113]
	v_add_f64 v[6:7], v[104:105], -v[116:117]
	v_add_f64 v[8:9], v[106:107], v[158:159]
	v_add_f64 v[10:11], v[162:163], -v[114:115]
	v_add_f64 v[12:13], v[4:5], v[0:1]
	v_fmac_f64_e32 v[80:81], v[44:45], v[124:125]
	v_fmac_f64_e32 v[38:39], v[18:19], v[214:215]
	v_fma_f64 v[44:45], v[22:23], v[214:215], -v[16:17]
	v_add_f64 v[14:15], v[4:5], -v[0:1]
	v_add_f64 v[0:1], v[0:1], -v[8:9]
	;; [unrolled: 1-line block ×3, first 2 shown]
	v_add_f64 v[16:17], v[10:11], v[6:7]
	v_add_f64 v[18:19], v[10:11], -v[6:7]
	v_add_f64 v[6:7], v[6:7], -v[2:3]
	v_add_f64 v[8:9], v[8:9], v[12:13]
	v_add_f64 v[10:11], v[2:3], -v[10:11]
	v_add_f64 v[2:3], v[16:17], v[2:3]
	v_add_f64 v[12:13], v[24:25], v[8:9]
	v_mul_f64 v[0:1], v[0:1], s[10:11]
	v_mul_f64 v[16:17], v[4:5], s[6:7]
	;; [unrolled: 1-line block ×4, first 2 shown]
	v_fma_f64 v[8:9], s[16:17], v[8:9], v[12:13]
	v_fma_f64 v[16:17], v[14:15], s[18:19], -v[16:17]
	v_fma_f64 v[14:15], v[14:15], s[20:21], -v[0:1]
	v_fmac_f64_e32 v[0:1], s[6:7], v[4:5]
	v_fma_f64 v[4:5], v[6:7], s[12:13], -v[18:19]
	v_fmac_f64_e32 v[18:19], s[22:23], v[10:11]
	v_fma_f64 v[6:7], v[10:11], s[26:27], -v[20:21]
	v_add_f64 v[0:1], v[0:1], v[8:9]
	v_add_f64 v[10:11], v[16:17], v[8:9]
	;; [unrolled: 1-line block ×3, first 2 shown]
	v_fmac_f64_e32 v[18:19], s[24:25], v[2:3]
	v_fmac_f64_e32 v[6:7], s[24:25], v[2:3]
	;; [unrolled: 1-line block ×3, first 2 shown]
	v_add_f64 v[2:3], v[18:19], v[0:1]
	v_add_f64 v[14:15], v[6:7], v[8:9]
	v_add_f64 v[6:7], v[8:9], -v[6:7]
	v_add_f64 v[0:1], v[0:1], -v[18:19]
	v_add_f64 v[8:9], v[84:85], v[102:103]
	v_add_f64 v[18:19], v[88:89], v[98:99]
	v_add_f64 v[16:17], v[10:11], -v[4:5]
	v_add_f64 v[4:5], v[4:5], v[10:11]
	v_add_f64 v[10:11], v[92:93], -v[86:87]
	v_add_f64 v[20:21], v[94:95], -v[100:101]
	v_add_f64 v[22:23], v[80:81], v[96:97]
	v_add_f64 v[24:25], v[90:91], -v[76:77]
	v_add_f64 v[78:79], v[18:19], v[8:9]
	v_add_f64 v[82:83], v[18:19], -v[8:9]
	v_add_f64 v[8:9], v[8:9], -v[22:23]
	;; [unrolled: 1-line block ×3, first 2 shown]
	v_add_f64 v[120:121], v[24:25], v[20:21]
	v_add_f64 v[122:123], v[24:25], -v[20:21]
	v_add_f64 v[20:21], v[20:21], -v[10:11]
	v_add_f64 v[22:23], v[22:23], v[78:79]
	v_add_f64 v[24:25], v[10:11], -v[24:25]
	v_add_f64 v[10:11], v[120:121], v[10:11]
	v_add_f64 v[78:79], v[146:147], v[22:23]
	v_mul_f64 v[8:9], v[8:9], s[10:11]
	v_mul_f64 v[120:121], v[18:19], s[6:7]
	;; [unrolled: 1-line block ×5, first 2 shown]
	v_fma_f64 v[22:23], s[16:17], v[22:23], v[78:79]
	v_fma_f64 v[120:121], v[82:83], s[18:19], -v[120:121]
	v_fma_f64 v[82:83], v[82:83], s[20:21], -v[8:9]
	v_fmac_f64_e32 v[8:9], s[6:7], v[18:19]
	v_fma_f64 v[18:19], v[20:21], s[12:13], -v[122:123]
	v_fma_f64 v[20:21], v[24:25], s[26:27], -v[124:125]
	v_fmac_f64_e32 v[72:73], v[152:153], v[202:203]
	v_fmac_f64_e32 v[122:123], s[22:23], v[24:25]
	v_add_f64 v[8:9], v[8:9], v[22:23]
	v_add_f64 v[24:25], v[120:121], v[22:23]
	;; [unrolled: 1-line block ×3, first 2 shown]
	v_fmac_f64_e32 v[20:21], s[24:25], v[10:11]
	v_fmac_f64_e32 v[122:123], s[24:25], v[10:11]
	v_add_f64 v[124:125], v[20:21], v[22:23]
	v_add_f64 v[20:21], v[22:23], -v[20:21]
	v_add_f64 v[22:23], v[26:27], v[72:73]
	v_add_f64 v[82:83], v[30:31], v[64:65]
	v_fmac_f64_e32 v[18:19], s[24:25], v[10:11]
	v_add_f64 v[10:11], v[122:123], v[8:9]
	v_add_f64 v[8:9], v[8:9], -v[122:123]
	v_add_f64 v[120:121], v[54:55], -v[70:71]
	v_add_f64 v[122:123], v[52:53], v[68:69]
	v_add_f64 v[128:129], v[32:33], -v[66:67]
	v_add_f64 v[130:131], v[82:83], v[22:23]
	;; [unrolled: 2-line block ×3, first 2 shown]
	v_add_f64 v[24:25], v[34:35], -v[74:75]
	v_add_f64 v[132:133], v[82:83], -v[22:23]
	;; [unrolled: 1-line block ×4, first 2 shown]
	v_add_f64 v[134:135], v[128:129], v[120:121]
	v_add_f64 v[146:147], v[128:129], -v[120:121]
	v_add_f64 v[122:123], v[122:123], v[130:131]
	v_add_f64 v[128:129], v[24:25], -v[128:129]
	v_add_f64 v[120:121], v[120:121], -v[24:25]
	v_add_f64 v[24:25], v[134:135], v[24:25]
	v_add_f64 v[130:131], v[144:145], v[122:123]
	v_mul_f64 v[22:23], v[22:23], s[10:11]
	v_mul_f64 v[134:135], v[82:83], s[6:7]
	v_mul_f64 v[144:145], v[146:147], s[14:15]
	v_mul_f64 v[146:147], v[120:121], s[12:13]
	v_fma_f64 v[122:123], s[16:17], v[122:123], v[130:131]
	v_fma_f64 v[134:135], v[132:133], s[18:19], -v[134:135]
	v_fma_f64 v[132:133], v[132:133], s[20:21], -v[22:23]
	v_fmac_f64_e32 v[22:23], s[6:7], v[82:83]
	v_fma_f64 v[82:83], v[120:121], s[12:13], -v[144:145]
	v_fmac_f64_e32 v[144:145], s[22:23], v[128:129]
	v_fma_f64 v[120:121], v[128:129], s[26:27], -v[146:147]
	v_add_f64 v[128:129], v[134:135], v[122:123]
	v_fmac_f64_e32 v[82:83], s[24:25], v[24:25]
	v_add_f64 v[134:135], v[128:129], -v[82:83]
	v_add_f64 v[128:129], v[82:83], v[128:129]
	v_mov_b32_e32 v82, 0x9d8
	v_cndmask_b32_e64 v82, 0, v82, s[2:3]
	v_lshlrev_b32_e32 v83, 3, v142
	v_add3_u32 v83, 0, v82, v83
	ds_write2_b64 v83, v[12:13], v[2:3] offset1:45
	ds_write2_b64 v83, v[14:15], v[16:17] offset0:90 offset1:135
	ds_write2_b64 v83, v[4:5], v[6:7] offset0:180 offset1:225
	ds_write_b64 v83, v[0:1] offset:2160
	v_mov_b32_e32 v1, 3
	v_add_f64 v[22:23], v[22:23], v[122:123]
	v_add_f64 v[122:123], v[132:133], v[122:123]
	v_fmac_f64_e32 v[120:121], s[24:25], v[24:25]
	v_mul_u32_u24_e32 v0, 0x9d8, v164
	v_lshlrev_b32_sdwa v2, v1, v165 dst_sel:DWORD dst_unused:UNUSED_PAD src0_sel:DWORD src1_sel:BYTE_0
	v_fmac_f64_e32 v[144:145], s[24:25], v[24:25]
	v_add_f64 v[132:133], v[120:121], v[122:123]
	v_add_f64 v[122:123], v[122:123], -v[120:121]
	v_add3_u32 v120, 0, v0, v2
	v_mul_u32_u24_e32 v0, 0x9d8, v240
	v_lshlrev_b32_sdwa v1, v1, v241 dst_sel:DWORD dst_unused:UNUSED_PAD src0_sel:DWORD src1_sel:BYTE_0
	v_add_f64 v[24:25], v[144:145], v[22:23]
	v_add3_u32 v121, 0, v0, v1
	v_lshl_add_u32 v82, v242, 3, 0
	v_add_f64 v[22:23], v[22:23], -v[144:145]
	ds_write2_b64 v120, v[78:79], v[10:11] offset1:45
	ds_write2_b64 v120, v[124:125], v[126:127] offset0:90 offset1:135
	ds_write2_b64 v120, v[18:19], v[20:21] offset0:180 offset1:225
	ds_write_b64 v120, v[8:9] offset:2160
	ds_write2_b64 v121, v[130:131], v[24:25] offset1:45
	ds_write2_b64 v121, v[132:133], v[134:135] offset0:90 offset1:135
	ds_write2_b64 v121, v[128:129], v[122:123] offset0:180 offset1:225
	ds_write_b64 v121, v[22:23] offset:2160
	s_and_saveexec_b64 s[2:3], s[0:1]
	s_cbranch_execz .LBB0_33
; %bb.32:
	v_add_f64 v[0:1], v[42:43], v[48:49]
	v_add_f64 v[8:9], v[36:37], v[60:61]
	;; [unrolled: 1-line block ×3, first 2 shown]
	v_add_f64 v[10:11], v[8:9], -v[0:1]
	v_add_f64 v[4:5], v[0:1], -v[2:3]
	v_mul_f64 v[10:11], v[10:11], s[10:11]
	v_add_f64 v[12:13], v[2:3], v[8:9]
	v_add_f64 v[14:15], v[50:51], -v[46:47]
	v_add_f64 v[16:17], v[44:45], -v[58:59]
	;; [unrolled: 1-line block ×4, first 2 shown]
	v_mul_f64 v[6:7], v[4:5], s[6:7]
	v_fma_f64 v[4:5], s[6:7], v[4:5], v[10:11]
	v_add_f64 v[0:1], v[0:1], v[12:13]
	v_add_f64 v[22:23], v[14:15], -v[16:17]
	v_fma_f64 v[8:9], v[2:3], s[20:21], -v[10:11]
	v_add_f64 v[10:11], v[16:17], -v[20:21]
	v_add_f64 v[12:13], v[136:137], v[0:1]
	v_add_f64 v[18:19], v[14:15], v[16:17]
	v_mul_f64 v[22:23], v[22:23], s[14:15]
	v_add_f64 v[14:15], v[20:21], -v[14:15]
	v_mul_f64 v[16:17], v[10:11], s[12:13]
	v_fma_f64 v[0:1], s[16:17], v[0:1], v[12:13]
	v_add_f64 v[18:19], v[18:19], v[20:21]
	v_fma_f64 v[24:25], s[22:23], v[14:15], v[22:23]
	v_fma_f64 v[14:15], v[14:15], s[26:27], -v[16:17]
	v_add_f64 v[4:5], v[4:5], v[0:1]
	v_fmac_f64_e32 v[24:25], s[24:25], v[18:19]
	v_add_f64 v[8:9], v[8:9], v[0:1]
	v_fmac_f64_e32 v[14:15], s[24:25], v[18:19]
	v_fma_f64 v[10:11], v[10:11], s[12:13], -v[22:23]
	v_fma_f64 v[2:3], v[2:3], s[18:19], -v[6:7]
	v_add_f64 v[78:79], v[4:5], -v[24:25]
	v_add_f64 v[16:17], v[8:9], -v[14:15]
	v_fmac_f64_e32 v[10:11], s[24:25], v[18:19]
	v_add_f64 v[0:1], v[2:3], v[0:1]
	v_add_f64 v[6:7], v[14:15], v[8:9]
	v_add_f64 v[4:5], v[24:25], v[4:5]
	v_add_u32_e32 v8, 0x2400, v82
	v_add_f64 v[2:3], v[10:11], v[0:1]
	v_add_f64 v[0:1], v[0:1], -v[10:11]
	ds_write2_b64 v8, v[12:13], v[4:5] offset0:108 offset1:153
	v_add_u32_e32 v4, 0x2800, v82
	ds_write2_b64 v4, v[6:7], v[0:1] offset0:70 offset1:115
	ds_write2_b64 v4, v[2:3], v[16:17] offset0:160 offset1:205
	ds_write_b64 v82, v[78:79] offset:12240
.LBB0_33:
	s_or_b64 exec, exec, s[2:3]
	v_add_f64 v[0:1], v[108:109], v[112:113]
	v_add_f64 v[4:5], v[104:105], v[116:117]
	v_add_f64 v[6:7], v[110:111], -v[160:161]
	v_add_f64 v[8:9], v[114:115], v[162:163]
	v_add_f64 v[10:11], v[158:159], -v[106:107]
	;; [unrolled: 2-line block ×3, first 2 shown]
	v_add_f64 v[14:15], v[4:5], -v[0:1]
	v_add_f64 v[0:1], v[0:1], -v[8:9]
	v_add_f64 v[4:5], v[8:9], -v[4:5]
	v_add_f64 v[16:17], v[10:11], v[6:7]
	v_add_f64 v[18:19], v[10:11], -v[6:7]
	v_add_f64 v[8:9], v[8:9], v[12:13]
	v_add_f64 v[10:11], v[2:3], -v[10:11]
	v_add_f64 v[6:7], v[6:7], -v[2:3]
	v_add_f64 v[2:3], v[16:17], v[2:3]
	v_add_f64 v[104:105], v[28:29], v[8:9]
	v_mul_f64 v[0:1], v[0:1], s[10:11]
	v_mul_f64 v[12:13], v[4:5], s[6:7]
	;; [unrolled: 1-line block ×4, first 2 shown]
	v_fma_f64 v[8:9], s[16:17], v[8:9], v[104:105]
	v_fma_f64 v[12:13], v[14:15], s[18:19], -v[12:13]
	v_fma_f64 v[14:15], v[14:15], s[20:21], -v[0:1]
	v_fmac_f64_e32 v[0:1], s[6:7], v[4:5]
	v_fma_f64 v[4:5], v[6:7], s[12:13], -v[16:17]
	v_fmac_f64_e32 v[16:17], s[22:23], v[10:11]
	v_fma_f64 v[6:7], v[10:11], s[26:27], -v[18:19]
	v_add_f64 v[0:1], v[0:1], v[8:9]
	v_add_f64 v[10:11], v[12:13], v[8:9]
	v_fmac_f64_e32 v[16:17], s[24:25], v[2:3]
	v_fmac_f64_e32 v[4:5], s[24:25], v[2:3]
	v_add_f64 v[8:9], v[14:15], v[8:9]
	v_fmac_f64_e32 v[6:7], s[24:25], v[2:3]
	v_add_f64 v[106:107], v[0:1], -v[16:17]
	v_add_f64 v[110:111], v[4:5], v[10:11]
	v_add_f64 v[112:113], v[10:11], -v[4:5]
	v_add_f64 v[116:117], v[16:17], v[0:1]
	v_add_f64 v[0:1], v[92:93], v[86:87]
	;; [unrolled: 1-line block ×3, first 2 shown]
	v_add_f64 v[108:109], v[8:9], -v[6:7]
	v_add_f64 v[114:115], v[6:7], v[8:9]
	v_add_f64 v[6:7], v[88:89], -v[98:99]
	v_add_f64 v[8:9], v[76:77], v[90:91]
	;; [unrolled: 2-line block ×3, first 2 shown]
	v_add_f64 v[2:3], v[84:85], -v[102:103]
	v_add_f64 v[14:15], v[4:5], -v[0:1]
	;; [unrolled: 1-line block ×4, first 2 shown]
	v_add_f64 v[16:17], v[10:11], v[6:7]
	v_add_f64 v[18:19], v[10:11], -v[6:7]
	v_add_f64 v[8:9], v[8:9], v[12:13]
	v_add_f64 v[10:11], v[2:3], -v[10:11]
	v_add_f64 v[6:7], v[6:7], -v[2:3]
	v_add_f64 v[2:3], v[16:17], v[2:3]
	v_add_f64 v[76:77], v[150:151], v[8:9]
	v_mul_f64 v[0:1], v[0:1], s[10:11]
	v_mul_f64 v[12:13], v[4:5], s[6:7]
	;; [unrolled: 1-line block ×4, first 2 shown]
	v_fma_f64 v[8:9], s[16:17], v[8:9], v[76:77]
	v_fma_f64 v[12:13], v[14:15], s[18:19], -v[12:13]
	v_fma_f64 v[14:15], v[14:15], s[20:21], -v[0:1]
	v_fmac_f64_e32 v[0:1], s[6:7], v[4:5]
	v_fma_f64 v[4:5], v[6:7], s[12:13], -v[16:17]
	v_fmac_f64_e32 v[16:17], s[22:23], v[10:11]
	v_fma_f64 v[6:7], v[10:11], s[26:27], -v[18:19]
	v_add_f64 v[0:1], v[0:1], v[8:9]
	v_add_f64 v[10:11], v[12:13], v[8:9]
	v_fmac_f64_e32 v[16:17], s[24:25], v[2:3]
	v_fmac_f64_e32 v[4:5], s[24:25], v[2:3]
	v_add_f64 v[8:9], v[14:15], v[8:9]
	v_fmac_f64_e32 v[6:7], s[24:25], v[2:3]
	v_add_f64 v[80:81], v[0:1], -v[16:17]
	v_add_f64 v[92:93], v[4:5], v[10:11]
	v_add_f64 v[94:95], v[10:11], -v[4:5]
	v_add_f64 v[98:99], v[16:17], v[0:1]
	v_add_f64 v[0:1], v[34:35], v[74:75]
	;; [unrolled: 1-line block ×3, first 2 shown]
	v_add_f64 v[90:91], v[8:9], -v[6:7]
	v_add_f64 v[96:97], v[6:7], v[8:9]
	v_add_f64 v[6:7], v[30:31], -v[64:65]
	v_add_f64 v[8:9], v[66:67], v[32:33]
	v_add_f64 v[10:11], v[68:69], -v[52:53]
	v_add_f64 v[12:13], v[4:5], v[0:1]
	v_add_f64 v[2:3], v[26:27], -v[72:73]
	v_add_f64 v[14:15], v[4:5], -v[0:1]
	;; [unrolled: 1-line block ×4, first 2 shown]
	v_add_f64 v[16:17], v[10:11], v[6:7]
	v_add_f64 v[18:19], v[10:11], -v[6:7]
	v_add_f64 v[8:9], v[8:9], v[12:13]
	v_add_f64 v[10:11], v[2:3], -v[10:11]
	v_add_f64 v[6:7], v[6:7], -v[2:3]
	v_add_f64 v[2:3], v[16:17], v[2:3]
	v_add_f64 v[64:65], v[148:149], v[8:9]
	v_mul_f64 v[0:1], v[0:1], s[10:11]
	v_mul_f64 v[12:13], v[4:5], s[6:7]
	;; [unrolled: 1-line block ×4, first 2 shown]
	v_fma_f64 v[8:9], s[16:17], v[8:9], v[64:65]
	v_fma_f64 v[12:13], v[14:15], s[18:19], -v[12:13]
	v_fma_f64 v[14:15], v[14:15], s[20:21], -v[0:1]
	v_fmac_f64_e32 v[0:1], s[6:7], v[4:5]
	v_fma_f64 v[4:5], v[6:7], s[12:13], -v[16:17]
	v_fmac_f64_e32 v[16:17], s[22:23], v[10:11]
	v_fma_f64 v[6:7], v[10:11], s[26:27], -v[18:19]
	v_add_f64 v[0:1], v[0:1], v[8:9]
	v_fmac_f64_e32 v[16:17], s[24:25], v[2:3]
	v_add_f64 v[10:11], v[12:13], v[8:9]
	v_add_f64 v[8:9], v[14:15], v[8:9]
	v_fmac_f64_e32 v[4:5], s[24:25], v[2:3]
	v_fmac_f64_e32 v[6:7], s[24:25], v[2:3]
	v_add_f64 v[68:69], v[0:1], -v[16:17]
	v_add_f64 v[102:103], v[16:17], v[0:1]
	v_add_u32_e32 v0, 0x1000, v172
	v_add_f64 v[70:71], v[8:9], -v[6:7]
	v_add_f64 v[72:73], v[4:5], v[10:11]
	v_add_f64 v[74:75], v[10:11], -v[4:5]
	v_add_f64 v[100:101], v[6:7], v[8:9]
	s_waitcnt lgkmcnt(0)
	; wave barrier
	s_waitcnt lgkmcnt(0)
	ds_read2_b64 v[4:7], v0 offset0:118 offset1:181
	v_add_u32_e32 v0, 0x1800, v172
	ds_read2_b64 v[8:11], v0 offset0:114 offset1:177
	v_add_u32_e32 v0, 0x2400, v172
	v_add_u32_e32 v12, 0x800, v172
	v_add_u32_e32 v16, 0x1c00, v172
	v_add_u32_e32 v20, 0x1400, v172
	ds_read_b64 v[84:85], v172
	ds_read2_b64 v[0:3], v0 offset0:108 offset1:171
	ds_read2_b64 v[12:15], v12 offset0:122 offset1:185
	;; [unrolled: 1-line block ×3, first 2 shown]
	ds_read_b64 v[78:79], v174
	ds_read2_b64 v[24:27], v20 offset0:116 offset1:179
	v_add_u32_e32 v20, 0x2800, v172
	v_add_u32_e32 v28, 0xc00, v172
	;; [unrolled: 1-line block ×3, first 2 shown]
	ds_read2_b64 v[20:23], v20 offset0:106 offset1:169
	ds_read_b64 v[66:67], v175
	ds_read2_b64 v[28:31], v28 offset0:120 offset1:183
	ds_read2_b64 v[32:35], v32 offset0:110 offset1:173
	ds_read_b64 v[86:87], v177
	ds_read_b64 v[54:55], v176
	;; [unrolled: 1-line block ×3, first 2 shown]
	ds_read_b64 v[52:53], v172 offset:12096
	s_waitcnt lgkmcnt(0)
	; wave barrier
	s_waitcnt lgkmcnt(0)
	ds_write2_b64 v83, v[104:105], v[106:107] offset1:45
	ds_write2_b64 v83, v[108:109], v[110:111] offset0:90 offset1:135
	ds_write2_b64 v83, v[112:113], v[114:115] offset0:180 offset1:225
	ds_write_b64 v83, v[116:117] offset:2160
	ds_write2_b64 v120, v[76:77], v[80:81] offset1:45
	ds_write2_b64 v120, v[90:91], v[92:93] offset0:90 offset1:135
	ds_write2_b64 v120, v[94:95], v[96:97] offset0:180 offset1:225
	ds_write_b64 v120, v[98:99] offset:2160
	;; [unrolled: 4-line block ×3, first 2 shown]
	s_and_saveexec_b64 s[2:3], s[0:1]
	s_cbranch_execz .LBB0_35
; %bb.34:
	v_add_f64 v[40:41], v[40:41], v[62:63]
	v_add_f64 v[44:45], v[44:45], v[58:59]
	;; [unrolled: 1-line block ×3, first 2 shown]
	s_mov_b32 s0, 0x37e14327
	v_add_f64 v[42:43], v[48:49], -v[42:43]
	v_add_f64 v[48:49], v[44:45], v[40:41]
	v_add_f64 v[50:51], v[44:45], -v[40:41]
	v_add_f64 v[40:41], v[40:41], -v[46:47]
	s_mov_b32 s1, 0x3fe948f6
	v_add_f64 v[38:39], v[38:39], -v[56:57]
	v_add_f64 v[44:45], v[46:47], -v[44:45]
	v_add_f64 v[46:47], v[46:47], v[48:49]
	v_mul_f64 v[40:41], v[40:41], s[0:1]
	s_mov_b32 s0, 0x36b3c0b5
	s_mov_b32 s10, 0xaaaaaaaa
	v_add_f64 v[36:37], v[36:37], -v[60:61]
	v_add_f64 v[56:57], v[42:43], v[38:39]
	v_add_f64 v[48:49], v[138:139], v[46:47]
	s_mov_b32 s1, 0x3fac98ee
	s_mov_b32 s6, 0xe976ee23
	;; [unrolled: 1-line block ×3, first 2 shown]
	v_add_f64 v[58:59], v[42:43], -v[38:39]
	v_add_f64 v[42:43], v[36:37], -v[42:43]
	;; [unrolled: 1-line block ×3, first 2 shown]
	v_add_f64 v[36:37], v[56:57], v[36:37]
	v_mul_f64 v[56:57], v[44:45], s[0:1]
	s_mov_b32 s7, 0x3fe11646
	v_fma_f64 v[46:47], s[10:11], v[46:47], v[48:49]
	s_mov_b32 s11, 0x3fe77f67
	s_mov_b32 s10, 0x5476071b
	v_mul_f64 v[58:59], v[58:59], s[6:7]
	s_mov_b32 s6, 0x429ad128
	v_fma_f64 v[56:57], v[50:51], s[10:11], -v[56:57]
	s_mov_b32 s11, 0xbfe77f67
	s_mov_b32 s7, 0xbfebfeb5
	v_fma_f64 v[50:51], v[50:51], s[10:11], -v[40:41]
	v_fmac_f64_e32 v[40:41], s[0:1], v[44:45]
	s_mov_b32 s1, 0xbfd5d0dc
	s_mov_b32 s0, 0xb247c609
	v_mul_f64 v[60:61], v[38:39], s[6:7]
	v_fma_f64 v[38:39], v[38:39], s[6:7], -v[58:59]
	v_fmac_f64_e32 v[58:59], s[0:1], v[42:43]
	s_mov_b32 s1, 0x3fd5d0dc
	v_fma_f64 v[42:43], v[42:43], s[0:1], -v[60:61]
	s_mov_b32 s0, 0x37c3f68c
	s_mov_b32 s1, 0xbfdc38aa
	v_add_f64 v[40:41], v[40:41], v[46:47]
	v_add_f64 v[44:45], v[56:57], v[46:47]
	v_fmac_f64_e32 v[58:59], s[0:1], v[36:37]
	v_fmac_f64_e32 v[38:39], s[0:1], v[36:37]
	v_add_f64 v[46:47], v[50:51], v[46:47]
	v_fmac_f64_e32 v[42:43], s[0:1], v[36:37]
	v_add_f64 v[36:37], v[40:41], -v[58:59]
	v_add_f64 v[56:57], v[38:39], v[44:45]
	v_add_f64 v[38:39], v[44:45], -v[38:39]
	v_add_u32_e32 v44, 0x2400, v82
	v_add_f64 v[50:51], v[46:47], -v[42:43]
	ds_write2_b64 v44, v[48:49], v[36:37] offset0:108 offset1:153
	v_add_u32_e32 v36, 0x2800, v82
	v_add_f64 v[42:43], v[42:43], v[46:47]
	v_add_f64 v[40:41], v[58:59], v[40:41]
	ds_write2_b64 v36, v[50:51], v[56:57] offset0:70 offset1:115
	ds_write2_b64 v36, v[38:39], v[42:43] offset0:160 offset1:205
	ds_write_b64 v82, v[40:41] offset:12240
.LBB0_35:
	s_or_b64 exec, exec, s[2:3]
	s_waitcnt lgkmcnt(0)
	; wave barrier
	s_waitcnt lgkmcnt(0)
	s_and_saveexec_b64 s[0:1], vcc
	s_cbranch_execz .LBB0_37
; %bb.36:
	v_lshlrev_b32_e32 v90, 2, v143
	v_mov_b32_e32 v91, 0
	v_lshl_add_u64 v[40:41], v[90:91], 4, s[4:5]
	s_mov_b64 s[14:15], 0x1380
	v_lshl_add_u64 v[56:57], v[40:41], 0, s[14:15]
	v_add_co_u32_e32 v58, vcc, 0x1000, v40
	global_load_dwordx4 v[36:39], v[56:57], off offset:32
	global_load_dwordx4 v[48:51], v[56:57], off offset:16
	v_addc_co_u32_e32 v59, vcc, 0, v41, vcc
	global_load_dwordx4 v[40:43], v[58:59], off offset:896
	global_load_dwordx4 v[44:47], v[56:57], off offset:48
	v_lshlrev_b32_e32 v90, 2, v169
	s_movk_i32 s16, 0x1000
	v_lshl_add_u64 v[98:99], v[90:91], 4, s[4:5]
	v_add_co_u32_e32 v110, vcc, s16, v98
	v_add_u32_e32 v56, 0x1800, v172
	v_add_u32_e32 v57, 0xc00, v172
	;; [unrolled: 1-line block ×3, first 2 shown]
	v_lshl_add_u64 v[108:109], v[98:99], 0, s[14:15]
	v_addc_co_u32_e32 v111, vcc, 0, v99, vcc
	ds_read_b64 v[94:95], v177
	ds_read_b64 v[60:61], v176
	ds_read_b64 v[76:77], v175
	ds_read_b64 v[138:139], v174
	ds_read_b64 v[96:97], v173
	ds_read_b64 v[106:107], v172 offset:12096
	ds_read_b64 v[92:93], v172
	ds_read2_b64 v[80:83], v56 offset0:114 offset1:177
	ds_read2_b64 v[62:65], v57 offset0:120 offset1:183
	;; [unrolled: 1-line block ×3, first 2 shown]
	global_load_dwordx4 v[68:71], v[108:109], off offset:32
	global_load_dwordx4 v[72:75], v[108:109], off offset:16
	;; [unrolled: 1-line block ×4, first 2 shown]
	s_mov_b32 s0, 0x134454ff
	s_mov_b32 s1, 0x3fee6f0e
	;; [unrolled: 1-line block ×10, first 2 shown]
	v_lshlrev_b32_e32 v90, 2, v168
	s_waitcnt vmcnt(7)
	v_mul_f64 v[110:111], v[34:35], v[38:39]
	s_waitcnt vmcnt(6)
	v_mul_f64 v[108:109], v[8:9], v[50:51]
	s_waitcnt lgkmcnt(2)
	v_mul_f64 v[50:51], v[80:81], v[50:51]
	s_waitcnt lgkmcnt(0)
	v_mul_f64 v[112:113], v[58:59], v[38:39]
	v_fma_f64 v[38:39], v[48:49], v[80:81], -v[108:109]
	s_waitcnt vmcnt(5)
	v_mul_f64 v[80:81], v[30:31], v[42:43]
	v_fma_f64 v[58:59], v[36:37], v[58:59], -v[110:111]
	s_waitcnt vmcnt(4)
	v_mul_f64 v[108:109], v[52:53], v[46:47]
	v_fmac_f64_e32 v[50:51], v[8:9], v[48:49]
	v_mul_f64 v[8:9], v[64:65], v[42:43]
	v_mul_f64 v[110:111], v[106:107], v[46:47]
	v_fmac_f64_e32 v[112:113], v[34:35], v[36:37]
	v_fma_f64 v[34:35], v[40:41], v[64:65], -v[80:81]
	v_fma_f64 v[42:43], v[44:45], v[106:107], -v[108:109]
	v_fmac_f64_e32 v[8:9], v[30:31], v[40:41]
	v_fmac_f64_e32 v[110:111], v[52:53], v[44:45]
	v_add_f64 v[30:31], v[38:39], v[58:59]
	v_add_f64 v[36:37], v[38:39], -v[34:35]
	v_add_f64 v[40:41], v[58:59], -v[42:43]
	;; [unrolled: 1-line block ×3, first 2 shown]
	v_fma_f64 v[48:49], -0.5, v[30:31], v[60:61]
	v_add_f64 v[46:47], v[50:51], -v[112:113]
	v_add_f64 v[44:45], v[34:35], v[42:43]
	v_add_f64 v[64:65], v[34:35], -v[38:39]
	v_add_f64 v[80:81], v[42:43], -v[58:59]
	v_add_f64 v[30:31], v[34:35], v[60:61]
	v_add_f64 v[106:107], v[36:37], v[40:41]
	v_fma_f64 v[36:37], s[10:11], v[52:53], v[48:49]
	v_fmac_f64_e32 v[48:49], s[0:1], v[52:53]
	v_fma_f64 v[44:45], -0.5, v[44:45], v[60:61]
	v_add_f64 v[60:61], v[64:65], v[80:81]
	v_fmac_f64_e32 v[36:37], s[2:3], v[46:47]
	v_fmac_f64_e32 v[48:49], s[12:13], v[46:47]
	v_add_f64 v[30:31], v[38:39], v[30:31]
	v_fma_f64 v[40:41], s[0:1], v[46:47], v[44:45]
	v_fmac_f64_e32 v[44:45], s[10:11], v[46:47]
	v_fmac_f64_e32 v[36:37], s[6:7], v[60:61]
	;; [unrolled: 1-line block ×3, first 2 shown]
	v_add_f64 v[30:31], v[58:59], v[30:31]
	v_add_f64 v[60:61], v[34:35], -v[42:43]
	v_add_f64 v[34:35], v[8:9], v[110:111]
	v_fmac_f64_e32 v[40:41], s[2:3], v[52:53]
	v_fmac_f64_e32 v[44:45], s[12:13], v[52:53]
	v_add_f64 v[52:53], v[42:43], v[30:31]
	v_fma_f64 v[42:43], -0.5, v[34:35], v[54:55]
	v_add_f64 v[58:59], v[38:39], -v[58:59]
	v_add_f64 v[30:31], v[50:51], -v[8:9]
	;; [unrolled: 1-line block ×3, first 2 shown]
	v_fma_f64 v[38:39], s[10:11], v[58:59], v[42:43]
	v_fmac_f64_e32 v[42:43], s[0:1], v[58:59]
	v_add_f64 v[30:31], v[30:31], v[46:47]
	v_fmac_f64_e32 v[38:39], s[12:13], v[60:61]
	v_fmac_f64_e32 v[42:43], s[2:3], v[60:61]
	;; [unrolled: 1-line block ×4, first 2 shown]
	v_add_f64 v[30:31], v[8:9], -v[50:51]
	v_add_f64 v[34:35], v[110:111], -v[112:113]
	v_add_f64 v[30:31], v[30:31], v[34:35]
	v_add_f64 v[34:35], v[50:51], v[112:113]
	v_fma_f64 v[46:47], -0.5, v[34:35], v[54:55]
	v_fma_f64 v[34:35], s[0:1], v[60:61], v[46:47]
	v_fmac_f64_e32 v[46:47], s[10:11], v[60:61]
	v_fmac_f64_e32 v[34:35], s[12:13], v[58:59]
	;; [unrolled: 1-line block ×3, first 2 shown]
	v_add_f64 v[8:9], v[54:55], v[8:9]
	v_fmac_f64_e32 v[34:35], s[6:7], v[30:31]
	v_fmac_f64_e32 v[46:47], s[6:7], v[30:31]
	v_add_f64 v[8:9], v[50:51], v[8:9]
	v_lshl_add_u64 v[30:31], v[90:91], 4, s[4:5]
	v_add_f64 v[8:9], v[8:9], v[112:113]
	v_lshl_add_u64 v[54:55], v[30:31], 0, s[14:15]
	v_add_co_u32_e32 v30, vcc, s16, v30
	v_add_f64 v[50:51], v[8:9], v[110:111]
	v_add_u32_e32 v8, 0x1400, v172
	v_addc_co_u32_e32 v31, vcc, 0, v31, vcc
	v_fmac_f64_e32 v[40:41], s[6:7], v[106:107]
	v_fmac_f64_e32 v[44:45], s[6:7], v[106:107]
	ds_read2_b64 v[106:109], v8 offset0:116 offset1:179
	global_load_dwordx4 v[110:113], v[54:55], off offset:32
	global_load_dwordx4 v[114:117], v[54:55], off offset:16
	;; [unrolled: 1-line block ×4, first 2 shown]
	s_waitcnt vmcnt(5)
	v_mul_f64 v[30:31], v[28:29], v[100:101]
	v_fma_f64 v[58:59], v[98:99], v[62:63], -v[30:31]
	v_add_u32_e32 v30, 0x2800, v172
	ds_read2_b64 v[122:125], v30 offset0:106 offset1:169
	v_mul_f64 v[8:9], v[26:27], v[74:75]
	v_mul_f64 v[54:55], v[32:33], v[70:71]
	s_waitcnt vmcnt(4)
	v_mul_f64 v[60:61], v[22:23], v[104:105]
	s_waitcnt lgkmcnt(1)
	v_fma_f64 v[8:9], v[72:73], v[108:109], -v[8:9]
	v_fma_f64 v[54:55], v[68:69], v[56:57], -v[54:55]
	s_waitcnt lgkmcnt(0)
	v_fma_f64 v[80:81], v[102:103], v[124:125], -v[60:61]
	v_mul_f64 v[74:75], v[108:109], v[74:75]
	v_add_f64 v[30:31], v[8:9], -v[58:59]
	v_add_f64 v[60:61], v[54:55], -v[80:81]
	v_fmac_f64_e32 v[74:75], v[26:27], v[72:73]
	v_mul_f64 v[26:27], v[56:57], v[70:71]
	v_add_f64 v[64:65], v[30:31], v[60:61]
	v_fmac_f64_e32 v[26:27], v[32:33], v[68:69]
	v_add_f64 v[30:31], v[58:59], v[80:81]
	v_mul_f64 v[70:71], v[62:63], v[100:101]
	v_mul_f64 v[72:73], v[124:125], v[104:105]
	v_add_f64 v[32:33], v[74:75], -v[26:27]
	v_fma_f64 v[60:61], -0.5, v[30:31], v[76:77]
	v_fmac_f64_e32 v[70:71], v[28:29], v[98:99]
	v_fmac_f64_e32 v[72:73], v[22:23], v[102:103]
	v_fma_f64 v[30:31], s[0:1], v[32:33], v[60:61]
	v_add_f64 v[22:23], v[70:71], -v[72:73]
	v_fmac_f64_e32 v[60:61], s[10:11], v[32:33]
	v_add_f64 v[28:29], v[58:59], -v[8:9]
	v_add_f64 v[56:57], v[80:81], -v[54:55]
	v_fmac_f64_e32 v[30:31], s[2:3], v[22:23]
	v_fmac_f64_e32 v[60:61], s[12:13], v[22:23]
	v_add_f64 v[28:29], v[28:29], v[56:57]
	v_add_f64 v[56:57], v[8:9], v[54:55]
	v_fmac_f64_e32 v[30:31], s[6:7], v[64:65]
	v_fmac_f64_e32 v[60:61], s[6:7], v[64:65]
	v_fma_f64 v[64:65], -0.5, v[56:57], v[76:77]
	v_fma_f64 v[56:57], s[10:11], v[22:23], v[64:65]
	v_fmac_f64_e32 v[64:65], s[0:1], v[22:23]
	v_add_f64 v[22:23], v[58:59], v[76:77]
	v_add_f64 v[22:23], v[8:9], v[22:23]
	v_fmac_f64_e32 v[56:57], s[2:3], v[32:33]
	v_fmac_f64_e32 v[64:65], s[12:13], v[32:33]
	v_add_f64 v[22:23], v[54:55], v[22:23]
	v_fmac_f64_e32 v[56:57], s[6:7], v[28:29]
	v_fmac_f64_e32 v[64:65], s[6:7], v[28:29]
	v_add_f64 v[68:69], v[80:81], v[22:23]
	v_add_f64 v[22:23], v[74:75], -v[70:71]
	v_add_f64 v[28:29], v[26:27], -v[72:73]
	v_add_f64 v[22:23], v[22:23], v[28:29]
	v_add_f64 v[28:29], v[70:71], v[72:73]
	v_add_f64 v[32:33], v[58:59], -v[80:81]
	v_fma_f64 v[58:59], -0.5, v[28:29], v[66:67]
	v_add_f64 v[8:9], v[8:9], -v[54:55]
	v_fma_f64 v[28:29], s[10:11], v[8:9], v[58:59]
	v_fmac_f64_e32 v[58:59], s[0:1], v[8:9]
	v_fmac_f64_e32 v[28:29], s[12:13], v[32:33]
	;; [unrolled: 1-line block ×5, first 2 shown]
	v_add_f64 v[22:23], v[70:71], -v[74:75]
	v_add_f64 v[54:55], v[72:73], -v[26:27]
	v_add_f64 v[22:23], v[22:23], v[54:55]
	v_add_f64 v[54:55], v[74:75], v[26:27]
	v_fma_f64 v[62:63], -0.5, v[54:55], v[66:67]
	v_fma_f64 v[54:55], s[0:1], v[32:33], v[62:63]
	v_fmac_f64_e32 v[62:63], s[10:11], v[32:33]
	v_fmac_f64_e32 v[54:55], s[12:13], v[8:9]
	;; [unrolled: 1-line block ×5, first 2 shown]
	v_add_u32_e32 v22, 0x800, v172
	ds_read2_b64 v[98:101], v22 offset0:122 offset1:185
	v_add_u32_e32 v22, 0x1c00, v172
	ds_read2_b64 v[102:105], v22 offset0:112 offset1:175
	v_add_f64 v[8:9], v[66:67], v[70:71]
	v_add_f64 v[8:9], v[74:75], v[8:9]
	v_add_f64 v[8:9], v[8:9], v[26:27]
	s_waitcnt vmcnt(3)
	v_mul_f64 v[26:27], v[18:19], v[112:113]
	s_waitcnt lgkmcnt(0)
	v_fma_f64 v[74:75], v[110:111], v[104:105], -v[26:27]
	s_waitcnt vmcnt(0)
	v_mul_f64 v[26:27], v[20:21], v[128:129]
	v_lshlrev_b32_e32 v90, 2, v170
	v_fma_f64 v[70:71], v[126:127], v[122:123], -v[26:27]
	v_lshl_add_u64 v[26:27], v[90:91], 4, s[4:5]
	v_add_f64 v[66:67], v[8:9], v[72:73]
	v_lshl_add_u64 v[72:73], v[26:27], 0, s[14:15]
	v_add_co_u32_e32 v26, vcc, s16, v26
	global_load_dwordx4 v[130:133], v[72:73], off offset:32
	global_load_dwordx4 v[134:137], v[72:73], off offset:16
	v_addc_co_u32_e32 v27, vcc, 0, v27, vcc
	global_load_dwordx4 v[142:145], v[26:27], off offset:896
	v_mul_f64 v[8:9], v[24:25], v[116:117]
	v_mul_f64 v[22:23], v[14:15], v[120:121]
	v_fma_f64 v[8:9], v[114:115], v[106:107], -v[8:9]
	v_fma_f64 v[32:33], v[118:119], v[100:101], -v[22:23]
	v_mul_f64 v[108:109], v[106:107], v[116:117]
	v_mul_f64 v[124:125], v[104:105], v[112:113]
	global_load_dwordx4 v[104:107], v[72:73], off offset:48
	v_add_f64 v[22:23], v[8:9], -v[32:33]
	v_add_f64 v[26:27], v[74:75], -v[70:71]
	v_mul_f64 v[100:101], v[100:101], v[120:121]
	v_add_f64 v[26:27], v[22:23], v[26:27]
	v_fmac_f64_e32 v[108:109], v[24:25], v[114:115]
	v_fmac_f64_e32 v[124:125], v[18:19], v[110:111]
	v_add_f64 v[22:23], v[32:33], v[70:71]
	v_fmac_f64_e32 v[100:101], v[14:15], v[118:119]
	v_mul_f64 v[14:15], v[122:123], v[128:129]
	v_add_f64 v[18:19], v[108:109], -v[124:125]
	v_fma_f64 v[72:73], -0.5, v[22:23], v[138:139]
	v_fmac_f64_e32 v[14:15], v[20:21], v[126:127]
	v_fma_f64 v[22:23], s[0:1], v[18:19], v[72:73]
	v_add_f64 v[20:21], v[100:101], -v[14:15]
	v_fmac_f64_e32 v[72:73], s[10:11], v[18:19]
	v_fmac_f64_e32 v[22:23], s[2:3], v[20:21]
	;; [unrolled: 1-line block ×5, first 2 shown]
	v_add_f64 v[24:25], v[32:33], -v[8:9]
	v_add_f64 v[26:27], v[70:71], -v[74:75]
	v_add_f64 v[24:25], v[24:25], v[26:27]
	v_add_f64 v[26:27], v[8:9], v[74:75]
	v_fma_f64 v[76:77], -0.5, v[26:27], v[138:139]
	v_fma_f64 v[26:27], s[10:11], v[20:21], v[76:77]
	v_fmac_f64_e32 v[76:77], s[0:1], v[20:21]
	v_fmac_f64_e32 v[26:27], s[2:3], v[18:19]
	;; [unrolled: 1-line block ×3, first 2 shown]
	v_add_f64 v[18:19], v[32:33], v[138:139]
	v_add_f64 v[18:19], v[8:9], v[18:19]
	;; [unrolled: 1-line block ×4, first 2 shown]
	v_add_f64 v[18:19], v[108:109], -v[100:101]
	v_add_f64 v[20:21], v[124:125], -v[14:15]
	v_add_f64 v[18:19], v[18:19], v[20:21]
	v_add_f64 v[20:21], v[100:101], v[14:15]
	v_add_f64 v[32:33], v[32:33], -v[70:71]
	v_fma_f64 v[70:71], -0.5, v[20:21], v[78:79]
	v_add_f64 v[8:9], v[8:9], -v[74:75]
	v_fma_f64 v[20:21], s[10:11], v[8:9], v[70:71]
	v_fmac_f64_e32 v[70:71], s[0:1], v[8:9]
	v_fmac_f64_e32 v[20:21], s[12:13], v[32:33]
	;; [unrolled: 1-line block ×7, first 2 shown]
	v_add_f64 v[18:19], v[100:101], -v[108:109]
	v_add_f64 v[24:25], v[14:15], -v[124:125]
	v_add_f64 v[18:19], v[18:19], v[24:25]
	v_add_f64 v[24:25], v[108:109], v[124:125]
	v_fma_f64 v[74:75], -0.5, v[24:25], v[78:79]
	v_fma_f64 v[24:25], s[0:1], v[32:33], v[74:75]
	v_fmac_f64_e32 v[74:75], s[10:11], v[32:33]
	v_fmac_f64_e32 v[24:25], s[12:13], v[8:9]
	;; [unrolled: 1-line block ×5, first 2 shown]
	v_add_f64 v[8:9], v[78:79], v[100:101]
	v_add_u32_e32 v18, 0x1000, v172
	v_lshlrev_b32_e32 v90, 2, v166
	v_add_f64 v[8:9], v[108:109], v[8:9]
	ds_read2_b64 v[108:111], v18 offset0:118 offset1:181
	v_lshl_add_u64 v[18:19], v[90:91], 4, s[4:5]
	v_lshl_add_u64 v[32:33], v[18:19], 0, s[14:15]
	v_add_co_u32_e32 v18, vcc, s16, v18
	global_load_dwordx4 v[112:115], v[32:33], off offset:32
	global_load_dwordx4 v[116:119], v[32:33], off offset:16
	v_addc_co_u32_e32 v19, vcc, 0, v19, vcc
	global_load_dwordx4 v[120:123], v[18:19], off offset:896
	v_add_f64 v[8:9], v[8:9], v[124:125]
	global_load_dwordx4 v[124:127], v[32:33], off offset:48
	v_add_f64 v[78:79], v[8:9], v[14:15]
	s_waitcnt vmcnt(6)
	v_mul_f64 v[8:9], v[6:7], v[136:137]
	s_waitcnt lgkmcnt(0)
	v_fma_f64 v[100:101], v[134:135], v[110:111], -v[8:9]
	s_waitcnt vmcnt(5)
	v_mul_f64 v[8:9], v[12:13], v[144:145]
	v_fma_f64 v[32:33], v[142:143], v[98:99], -v[8:9]
	v_add_u32_e32 v8, 0x2400, v172
	ds_read2_b64 v[146:149], v8 offset0:108 offset1:171
	v_mul_f64 v[14:15], v[16:17], v[132:133]
	v_fma_f64 v[128:129], v[130:131], v[102:103], -v[14:15]
	s_waitcnt vmcnt(4)
	v_mul_f64 v[14:15], v[2:3], v[106:107]
	v_add_f64 v[8:9], v[100:101], -v[32:33]
	s_waitcnt lgkmcnt(0)
	v_fma_f64 v[138:139], v[104:105], v[148:149], -v[14:15]
	v_add_f64 v[14:15], v[128:129], -v[138:139]
	v_mul_f64 v[110:111], v[110:111], v[136:137]
	v_mul_f64 v[102:103], v[102:103], v[132:133]
	v_add_f64 v[14:15], v[8:9], v[14:15]
	v_fmac_f64_e32 v[110:111], v[6:7], v[134:135]
	v_fmac_f64_e32 v[102:103], v[16:17], v[130:131]
	v_add_f64 v[8:9], v[32:33], v[138:139]
	v_mul_f64 v[130:131], v[98:99], v[144:145]
	v_mul_f64 v[106:107], v[148:149], v[106:107]
	v_add_f64 v[6:7], v[110:111], -v[102:103]
	v_fma_f64 v[18:19], -0.5, v[8:9], v[96:97]
	v_fmac_f64_e32 v[130:131], v[12:13], v[142:143]
	v_fmac_f64_e32 v[106:107], v[2:3], v[104:105]
	v_fma_f64 v[8:9], s[0:1], v[6:7], v[18:19]
	v_add_f64 v[2:3], v[130:131], -v[106:107]
	v_fmac_f64_e32 v[18:19], s[10:11], v[6:7]
	v_fmac_f64_e32 v[8:9], s[2:3], v[2:3]
	;; [unrolled: 1-line block ×5, first 2 shown]
	v_add_f64 v[12:13], v[32:33], -v[100:101]
	v_add_f64 v[14:15], v[138:139], -v[128:129]
	v_add_f64 v[12:13], v[12:13], v[14:15]
	v_add_f64 v[14:15], v[100:101], v[128:129]
	v_fma_f64 v[98:99], -0.5, v[14:15], v[96:97]
	v_fma_f64 v[14:15], s[10:11], v[2:3], v[98:99]
	v_fmac_f64_e32 v[98:99], s[0:1], v[2:3]
	v_add_f64 v[2:3], v[32:33], v[96:97]
	v_add_f64 v[2:3], v[100:101], v[2:3]
	;; [unrolled: 1-line block ×3, first 2 shown]
	v_fmac_f64_e32 v[14:15], s[2:3], v[6:7]
	v_fmac_f64_e32 v[98:99], s[12:13], v[6:7]
	v_add_f64 v[90:91], v[138:139], v[2:3]
	v_add_f64 v[2:3], v[110:111], -v[130:131]
	v_add_f64 v[6:7], v[102:103], -v[106:107]
	v_add_f64 v[2:3], v[2:3], v[6:7]
	v_add_f64 v[6:7], v[130:131], v[106:107]
	v_fma_f64 v[16:17], -0.5, v[6:7], v[88:89]
	v_add_f64 v[100:101], v[100:101], -v[128:129]
	v_add_f64 v[32:33], v[32:33], -v[138:139]
	v_fma_f64 v[6:7], s[10:11], v[100:101], v[16:17]
	v_fmac_f64_e32 v[16:17], s[0:1], v[100:101]
	v_fmac_f64_e32 v[6:7], s[12:13], v[32:33]
	;; [unrolled: 1-line block ×7, first 2 shown]
	v_add_f64 v[2:3], v[130:131], -v[110:111]
	v_add_f64 v[12:13], v[106:107], -v[102:103]
	v_add_f64 v[2:3], v[2:3], v[12:13]
	v_add_f64 v[12:13], v[110:111], v[102:103]
	v_fma_f64 v[96:97], -0.5, v[12:13], v[88:89]
	v_fma_f64 v[12:13], s[0:1], v[32:33], v[96:97]
	v_fmac_f64_e32 v[96:97], s[10:11], v[32:33]
	v_fmac_f64_e32 v[12:13], s[12:13], v[100:101]
	;; [unrolled: 1-line block ×5, first 2 shown]
	v_add_f64 v[2:3], v[88:89], v[130:131]
	v_add_f64 v[2:3], v[110:111], v[2:3]
	;; [unrolled: 1-line block ×4, first 2 shown]
	s_waitcnt vmcnt(2)
	v_mul_f64 v[2:3], v[4:5], v[118:119]
	v_mul_f64 v[102:103], v[10:11], v[114:115]
	v_fma_f64 v[32:33], v[116:117], v[108:109], -v[2:3]
	s_waitcnt vmcnt(1)
	v_mul_f64 v[2:3], v[86:87], v[122:123]
	v_fma_f64 v[104:105], v[112:113], v[82:83], -v[102:103]
	s_waitcnt vmcnt(0)
	v_mul_f64 v[102:103], v[0:1], v[126:127]
	v_fma_f64 v[100:101], v[120:121], v[94:95], -v[2:3]
	v_fma_f64 v[110:111], v[124:125], v[146:147], -v[102:103]
	v_mul_f64 v[108:109], v[108:109], v[118:119]
	v_add_f64 v[2:3], v[32:33], -v[100:101]
	v_add_f64 v[102:103], v[104:105], -v[110:111]
	v_fmac_f64_e32 v[108:109], v[4:5], v[116:117]
	v_mul_f64 v[4:5], v[82:83], v[114:115]
	v_add_f64 v[106:107], v[2:3], v[102:103]
	v_fmac_f64_e32 v[4:5], v[10:11], v[112:113]
	v_add_f64 v[2:3], v[100:101], v[110:111]
	v_mul_f64 v[82:83], v[94:95], v[122:123]
	v_mul_f64 v[112:113], v[146:147], v[126:127]
	v_add_f64 v[10:11], v[108:109], -v[4:5]
	v_fma_f64 v[2:3], -0.5, v[2:3], v[92:93]
	v_fmac_f64_e32 v[82:83], v[86:87], v[120:121]
	v_fmac_f64_e32 v[112:113], v[0:1], v[124:125]
	v_add_f64 v[86:87], v[100:101], -v[32:33]
	v_add_f64 v[94:95], v[110:111], -v[104:105]
	v_fma_f64 v[102:103], s[0:1], v[10:11], v[2:3]
	v_add_f64 v[0:1], v[82:83], -v[112:113]
	v_fmac_f64_e32 v[2:3], s[10:11], v[10:11]
	v_add_f64 v[86:87], v[86:87], v[94:95]
	v_add_f64 v[94:95], v[32:33], v[104:105]
	v_fmac_f64_e32 v[102:103], s[2:3], v[0:1]
	v_fmac_f64_e32 v[2:3], s[12:13], v[0:1]
	v_fma_f64 v[94:95], -0.5, v[94:95], v[92:93]
	v_fmac_f64_e32 v[102:103], s[6:7], v[106:107]
	v_fmac_f64_e32 v[2:3], s[6:7], v[106:107]
	v_fma_f64 v[106:107], s[10:11], v[0:1], v[94:95]
	v_fmac_f64_e32 v[94:95], s[0:1], v[0:1]
	v_add_f64 v[0:1], v[100:101], v[92:93]
	v_add_f64 v[0:1], v[32:33], v[0:1]
	v_fmac_f64_e32 v[106:107], s[2:3], v[10:11]
	v_fmac_f64_e32 v[94:95], s[12:13], v[10:11]
	v_add_f64 v[0:1], v[104:105], v[0:1]
	v_fmac_f64_e32 v[106:107], s[6:7], v[86:87]
	v_fmac_f64_e32 v[94:95], s[6:7], v[86:87]
	v_add_f64 v[86:87], v[110:111], v[0:1]
	v_add_f64 v[0:1], v[108:109], -v[82:83]
	v_add_f64 v[10:11], v[4:5], -v[112:113]
	v_add_f64 v[10:11], v[0:1], v[10:11]
	v_add_f64 v[0:1], v[82:83], v[112:113]
	v_fma_f64 v[0:1], -0.5, v[0:1], v[84:85]
	v_add_f64 v[32:33], v[32:33], -v[104:105]
	v_add_f64 v[110:111], v[100:101], -v[110:111]
	v_fma_f64 v[100:101], s[10:11], v[32:33], v[0:1]
	v_fmac_f64_e32 v[0:1], s[0:1], v[32:33]
	v_fmac_f64_e32 v[100:101], s[12:13], v[110:111]
	;; [unrolled: 1-line block ×5, first 2 shown]
	v_add_f64 v[10:11], v[82:83], -v[108:109]
	v_add_f64 v[92:93], v[112:113], -v[4:5]
	v_add_f64 v[10:11], v[10:11], v[92:93]
	v_add_f64 v[92:93], v[108:109], v[4:5]
	v_fma_f64 v[92:93], -0.5, v[92:93], v[84:85]
	v_fma_f64 v[104:105], s[0:1], v[110:111], v[92:93]
	v_fmac_f64_e32 v[92:93], s[10:11], v[110:111]
	v_fmac_f64_e32 v[104:105], s[12:13], v[32:33]
	;; [unrolled: 1-line block ×5, first 2 shown]
	v_add_f64 v[10:11], v[84:85], v[82:83]
	v_add_f64 v[10:11], v[108:109], v[10:11]
	;; [unrolled: 1-line block ×4, first 2 shown]
	v_mad_u64_u32 v[4:5], s[0:1], s8, v166, 0
	v_mov_b32_e32 v10, v5
	v_mad_u64_u32 v[10:11], s[0:1], s9, v166, v[10:11]
	v_mov_b32_e32 v5, v10
	v_lshl_add_u64 v[4:5], v[4:5], 4, v[140:141]
	v_add_u32_e32 v11, 0x13b, v166
	global_store_dwordx4 v[4:5], v[84:87], off
	v_mad_u64_u32 v[4:5], s[0:1], s8, v11, 0
	v_mov_b32_e32 v10, v5
	v_mad_u64_u32 v[10:11], s[0:1], s9, v11, v[10:11]
	v_mov_b32_e32 v5, v10
	v_lshl_add_u64 v[4:5], v[4:5], 4, v[140:141]
	v_add_u32_e32 v11, 0x276, v166
	global_store_dwordx4 v[4:5], v[92:95], off
	v_mad_u64_u32 v[4:5], s[0:1], s8, v11, 0
	v_mov_b32_e32 v10, v5
	v_mad_u64_u32 v[10:11], s[0:1], s9, v11, v[10:11]
	v_mov_b32_e32 v5, v10
	v_lshl_add_u64 v[4:5], v[4:5], 4, v[140:141]
	global_store_dwordx4 v[4:5], v[0:3], off
	s_movk_i32 s2, 0x4ec
	s_nop 0
	v_add_u32_e32 v3, 0x3b1, v166
	v_mad_u64_u32 v[0:1], s[0:1], s8, v3, 0
	v_mov_b32_e32 v2, v1
	v_mad_u64_u32 v[2:3], s[0:1], s9, v3, v[2:3]
	v_mov_b32_e32 v1, v2
	v_lshl_add_u64 v[0:1], v[0:1], 4, v[140:141]
	v_add_u32_e32 v3, 0x4ec, v166
	global_store_dwordx4 v[0:1], v[100:103], off
	v_mad_u64_u32 v[0:1], s[0:1], s8, v3, 0
	v_mov_b32_e32 v2, v1
	v_mad_u64_u32 v[2:3], s[0:1], s9, v3, v[2:3]
	v_mov_b32_e32 v1, v2
	v_lshl_add_u64 v[0:1], v[0:1], 4, v[140:141]
	global_store_dwordx4 v[0:1], v[104:107], off
	v_mad_u64_u32 v[0:1], s[0:1], s8, v167, 0
	v_mov_b32_e32 v2, v1
	v_mad_u64_u32 v[2:3], s[0:1], s9, v167, v[2:3]
	v_mov_b32_e32 v1, v2
	v_lshl_add_u64 v[0:1], v[0:1], 4, v[140:141]
	v_add_u32_e32 v3, 0x17a, v166
	global_store_dwordx4 v[0:1], v[88:91], off
	v_mad_u64_u32 v[0:1], s[0:1], s8, v3, 0
	v_mov_b32_e32 v2, v1
	v_mad_u64_u32 v[2:3], s[0:1], s9, v3, v[2:3]
	v_mov_b32_e32 v1, v2
	v_lshl_add_u64 v[0:1], v[0:1], 4, v[140:141]
	v_add_u32_e32 v3, 0x2b5, v166
	;; [unrolled: 7-line block ×10, first 2 shown]
	global_store_dwordx4 v[0:1], v[24:27], off
	v_mad_u64_u32 v[0:1], s[0:1], s8, v3, 0
	v_mov_b32_e32 v2, v1
	v_mad_u64_u32 v[2:3], s[0:1], s9, v3, v[2:3]
	v_mov_b32_e32 v1, v2
	v_lshl_add_u64 v[0:1], v[0:1], 4, v[140:141]
	global_store_dwordx4 v[0:1], v[66:69], off
	v_mad_u64_u32 v[0:1], s[0:1], s8, v171, 0
	v_mov_b32_e32 v2, v1
	v_mad_u64_u32 v[2:3], s[0:1], s9, v171, v[2:3]
	v_mov_b32_e32 v1, v2
	v_lshl_add_u64 v[0:1], v[0:1], 4, v[140:141]
	v_add_u32_e32 v3, 0x333, v166
	global_store_dwordx4 v[0:1], v[62:65], off
	v_mad_u64_u32 v[0:1], s[0:1], s8, v3, 0
	v_mov_b32_e32 v2, v1
	v_mad_u64_u32 v[2:3], s[0:1], s9, v3, v[2:3]
	v_mov_b32_e32 v1, v2
	v_lshl_add_u64 v[0:1], v[0:1], 4, v[140:141]
	v_add_u32_e32 v3, 0x46e, v166
	;; [unrolled: 7-line block ×3, first 2 shown]
	global_store_dwordx4 v[0:1], v[28:31], off
	v_mad_u64_u32 v[0:1], s[0:1], s8, v3, 0
	v_mov_b32_e32 v2, v1
	v_mad_u64_u32 v[2:3], s[0:1], s9, v3, v[2:3]
	v_mov_b32_e32 v1, v2
	v_lshl_add_u64 v[0:1], v[0:1], 4, v[140:141]
	global_store_dwordx4 v[0:1], v[54:57], off
	v_add_u32_e32 v0, 0xfc, v166
	s_mov_b32 s0, 0xa01a01a1
	v_mul_hi_u32 v1, v0, s0
	v_sub_u32_e32 v2, v0, v1
	v_lshrrev_b32_e32 v2, 1, v2
	v_add_u32_e32 v1, v2, v1
	v_lshrrev_b32_e32 v1, 8, v1
	v_mad_u32_u24 v4, v1, s2, v0
	v_mad_u64_u32 v[0:1], s[0:1], s8, v4, 0
	v_mov_b32_e32 v2, v1
	v_mad_u64_u32 v[2:3], s[0:1], s9, v4, v[2:3]
	v_mov_b32_e32 v1, v2
	v_lshl_add_u64 v[0:1], v[0:1], 4, v[140:141]
	v_add_u32_e32 v3, 0x13b, v4
	global_store_dwordx4 v[0:1], v[50:53], off
	v_mad_u64_u32 v[0:1], s[0:1], s8, v3, 0
	v_mov_b32_e32 v2, v1
	v_mad_u64_u32 v[2:3], s[0:1], s9, v3, v[2:3]
	v_mov_b32_e32 v1, v2
	v_lshl_add_u64 v[0:1], v[0:1], 4, v[140:141]
	v_add_u32_e32 v3, 0x276, v4
	global_store_dwordx4 v[0:1], v[46:49], off
	;; [unrolled: 7-line block ×4, first 2 shown]
	v_mad_u64_u32 v[0:1], s[0:1], s8, v3, 0
	v_mov_b32_e32 v2, v1
	v_mad_u64_u32 v[2:3], s[0:1], s9, v3, v[2:3]
	v_mov_b32_e32 v1, v2
	v_lshl_add_u64 v[0:1], v[0:1], 4, v[140:141]
	global_store_dwordx4 v[0:1], v[34:37], off
.LBB0_37:
	s_endpgm
	.section	.rodata,"a",@progbits
	.p2align	6, 0x0
	.amdhsa_kernel fft_rtc_back_len1575_factors_3_3_5_7_5_wgs_63_tpt_63_halfLds_dp_ip_CI_sbrr_dirReg
		.amdhsa_group_segment_fixed_size 0
		.amdhsa_private_segment_fixed_size 0
		.amdhsa_kernarg_size 88
		.amdhsa_user_sgpr_count 2
		.amdhsa_user_sgpr_dispatch_ptr 0
		.amdhsa_user_sgpr_queue_ptr 0
		.amdhsa_user_sgpr_kernarg_segment_ptr 1
		.amdhsa_user_sgpr_dispatch_id 0
		.amdhsa_user_sgpr_kernarg_preload_length 0
		.amdhsa_user_sgpr_kernarg_preload_offset 0
		.amdhsa_user_sgpr_private_segment_size 0
		.amdhsa_uses_dynamic_stack 0
		.amdhsa_enable_private_segment 0
		.amdhsa_system_sgpr_workgroup_id_x 1
		.amdhsa_system_sgpr_workgroup_id_y 0
		.amdhsa_system_sgpr_workgroup_id_z 0
		.amdhsa_system_sgpr_workgroup_info 0
		.amdhsa_system_vgpr_workitem_id 0
		.amdhsa_next_free_vgpr 244
		.amdhsa_next_free_sgpr 28
		.amdhsa_accum_offset 244
		.amdhsa_reserve_vcc 1
		.amdhsa_float_round_mode_32 0
		.amdhsa_float_round_mode_16_64 0
		.amdhsa_float_denorm_mode_32 3
		.amdhsa_float_denorm_mode_16_64 3
		.amdhsa_dx10_clamp 1
		.amdhsa_ieee_mode 1
		.amdhsa_fp16_overflow 0
		.amdhsa_tg_split 0
		.amdhsa_exception_fp_ieee_invalid_op 0
		.amdhsa_exception_fp_denorm_src 0
		.amdhsa_exception_fp_ieee_div_zero 0
		.amdhsa_exception_fp_ieee_overflow 0
		.amdhsa_exception_fp_ieee_underflow 0
		.amdhsa_exception_fp_ieee_inexact 0
		.amdhsa_exception_int_div_zero 0
	.end_amdhsa_kernel
	.text
.Lfunc_end0:
	.size	fft_rtc_back_len1575_factors_3_3_5_7_5_wgs_63_tpt_63_halfLds_dp_ip_CI_sbrr_dirReg, .Lfunc_end0-fft_rtc_back_len1575_factors_3_3_5_7_5_wgs_63_tpt_63_halfLds_dp_ip_CI_sbrr_dirReg
                                        ; -- End function
	.section	.AMDGPU.csdata,"",@progbits
; Kernel info:
; codeLenInByte = 19676
; NumSgprs: 34
; NumVgprs: 244
; NumAgprs: 0
; TotalNumVgprs: 244
; ScratchSize: 0
; MemoryBound: 1
; FloatMode: 240
; IeeeMode: 1
; LDSByteSize: 0 bytes/workgroup (compile time only)
; SGPRBlocks: 4
; VGPRBlocks: 30
; NumSGPRsForWavesPerEU: 34
; NumVGPRsForWavesPerEU: 244
; AccumOffset: 244
; Occupancy: 2
; WaveLimiterHint : 1
; COMPUTE_PGM_RSRC2:SCRATCH_EN: 0
; COMPUTE_PGM_RSRC2:USER_SGPR: 2
; COMPUTE_PGM_RSRC2:TRAP_HANDLER: 0
; COMPUTE_PGM_RSRC2:TGID_X_EN: 1
; COMPUTE_PGM_RSRC2:TGID_Y_EN: 0
; COMPUTE_PGM_RSRC2:TGID_Z_EN: 0
; COMPUTE_PGM_RSRC2:TIDIG_COMP_CNT: 0
; COMPUTE_PGM_RSRC3_GFX90A:ACCUM_OFFSET: 60
; COMPUTE_PGM_RSRC3_GFX90A:TG_SPLIT: 0
	.text
	.p2alignl 6, 3212836864
	.fill 256, 4, 3212836864
	.type	__hip_cuid_274196a2bf20aa6d,@object ; @__hip_cuid_274196a2bf20aa6d
	.section	.bss,"aw",@nobits
	.globl	__hip_cuid_274196a2bf20aa6d
__hip_cuid_274196a2bf20aa6d:
	.byte	0                               ; 0x0
	.size	__hip_cuid_274196a2bf20aa6d, 1

	.ident	"AMD clang version 19.0.0git (https://github.com/RadeonOpenCompute/llvm-project roc-6.4.0 25133 c7fe45cf4b819c5991fe208aaa96edf142730f1d)"
	.section	".note.GNU-stack","",@progbits
	.addrsig
	.addrsig_sym __hip_cuid_274196a2bf20aa6d
	.amdgpu_metadata
---
amdhsa.kernels:
  - .agpr_count:     0
    .args:
      - .actual_access:  read_only
        .address_space:  global
        .offset:         0
        .size:           8
        .value_kind:     global_buffer
      - .offset:         8
        .size:           8
        .value_kind:     by_value
      - .actual_access:  read_only
        .address_space:  global
        .offset:         16
        .size:           8
        .value_kind:     global_buffer
      - .actual_access:  read_only
        .address_space:  global
        .offset:         24
        .size:           8
        .value_kind:     global_buffer
      - .offset:         32
        .size:           8
        .value_kind:     by_value
      - .actual_access:  read_only
        .address_space:  global
        .offset:         40
        .size:           8
        .value_kind:     global_buffer
      - .actual_access:  read_only
        .address_space:  global
        .offset:         48
        .size:           8
        .value_kind:     global_buffer
      - .offset:         56
        .size:           4
        .value_kind:     by_value
      - .actual_access:  read_only
        .address_space:  global
        .offset:         64
        .size:           8
        .value_kind:     global_buffer
      - .actual_access:  read_only
        .address_space:  global
        .offset:         72
        .size:           8
        .value_kind:     global_buffer
      - .address_space:  global
        .offset:         80
        .size:           8
        .value_kind:     global_buffer
    .group_segment_fixed_size: 0
    .kernarg_segment_align: 8
    .kernarg_segment_size: 88
    .language:       OpenCL C
    .language_version:
      - 2
      - 0
    .max_flat_workgroup_size: 63
    .name:           fft_rtc_back_len1575_factors_3_3_5_7_5_wgs_63_tpt_63_halfLds_dp_ip_CI_sbrr_dirReg
    .private_segment_fixed_size: 0
    .sgpr_count:     34
    .sgpr_spill_count: 0
    .symbol:         fft_rtc_back_len1575_factors_3_3_5_7_5_wgs_63_tpt_63_halfLds_dp_ip_CI_sbrr_dirReg.kd
    .uniform_work_group_size: 1
    .uses_dynamic_stack: false
    .vgpr_count:     244
    .vgpr_spill_count: 0
    .wavefront_size: 64
amdhsa.target:   amdgcn-amd-amdhsa--gfx950
amdhsa.version:
  - 1
  - 2
...

	.end_amdgpu_metadata
